;; amdgpu-corpus repo=ROCm/Tensile kind=harvested arch=n/a opt=n/a

/******************************************/
/* Function Prefix                        */
/******************************************/



/******************************************/
/* Begin Kernel                           */
/******************************************/

// Component.Signature.SignatureDefault
.amdgcn_target "amdgcn-amd-amdhsa--gfx942"
.text
.protected Cijk_Ailk_Bjlk_BBS_BH_MT64x64x64_MI16x16x16x1_SN_1LDSB0_APM1_AF0EM1_AF1EM1_AMAS3_ASE_ASGT_ASLT_ASM_ASAE01_ASCE01_ASEM1_BL1_BS1_CLR1_DTVA0_DTVB0_ETSP_EPS1_ELFLR4_EMLL0_FSSC10_FL0_GLVWA2_GLVWB2_GRCGA1_GRPM1_GRVWn1_GSU8_GSUAMB_GLS0_IU1_K1_LBSPPA512_LBSPPB512_LPA32_LPB32_LRVW4_LWPMn1_MIAV0_MKFGSU256_NTA0_NTB0_NTC0_NTD0_NEPBS16_NLCA1_NLCB1_ONLL1_PGR2_PLR5_PKA0_SIA3_SLW1_SS1_SU0_SUM0_SUS0_SPO0_SRVW0_SSO0_SVW2_TSGRA0_TSGRB0_TT2_32_TLDS0_UMLDSA0_UMLDSB0_USFGROn1_VAW1_VSn1_VW2_VWB2_VFLRP1_WSGRA1_WSGRB0_WG32_8_1_WGM30
.globl Cijk_Ailk_Bjlk_BBS_BH_MT64x64x64_MI16x16x16x1_SN_1LDSB0_APM1_AF0EM1_AF1EM1_AMAS3_ASE_ASGT_ASLT_ASM_ASAE01_ASCE01_ASEM1_BL1_BS1_CLR1_DTVA0_DTVB0_ETSP_EPS1_ELFLR4_EMLL0_FSSC10_FL0_GLVWA2_GLVWB2_GRCGA1_GRPM1_GRVWn1_GSU8_GSUAMB_GLS0_IU1_K1_LBSPPA512_LBSPPB512_LPA32_LPB32_LRVW4_LWPMn1_MIAV0_MKFGSU256_NTA0_NTB0_NTC0_NTD0_NEPBS16_NLCA1_NLCB1_ONLL1_PGR2_PLR5_PKA0_SIA3_SLW1_SS1_SU0_SUM0_SUS0_SPO0_SRVW0_SSO0_SVW2_TSGRA0_TSGRB0_TT2_32_TLDS0_UMLDSA0_UMLDSB0_USFGROn1_VAW1_VSn1_VW2_VWB2_VFLRP1_WSGRA1_WSGRB0_WG32_8_1_WGM30
.p2align 8
.type Cijk_Ailk_Bjlk_BBS_BH_MT64x64x64_MI16x16x16x1_SN_1LDSB0_APM1_AF0EM1_AF1EM1_AMAS3_ASE_ASGT_ASLT_ASM_ASAE01_ASCE01_ASEM1_BL1_BS1_CLR1_DTVA0_DTVB0_ETSP_EPS1_ELFLR4_EMLL0_FSSC10_FL0_GLVWA2_GLVWB2_GRCGA1_GRPM1_GRVWn1_GSU8_GSUAMB_GLS0_IU1_K1_LBSPPA512_LBSPPB512_LPA32_LPB32_LRVW4_LWPMn1_MIAV0_MKFGSU256_NTA0_NTB0_NTC0_NTD0_NEPBS16_NLCA1_NLCB1_ONLL1_PGR2_PLR5_PKA0_SIA3_SLW1_SS1_SU0_SUM0_SUS0_SPO0_SRVW0_SSO0_SVW2_TSGRA0_TSGRB0_TT2_32_TLDS0_UMLDSA0_UMLDSB0_USFGROn1_VAW1_VSn1_VW2_VWB2_VFLRP1_WSGRA1_WSGRB0_WG32_8_1_WGM30,@function
.section .rodata,#alloc
.p2align 6
.amdhsa_kernel Cijk_Ailk_Bjlk_BBS_BH_MT64x64x64_MI16x16x16x1_SN_1LDSB0_APM1_AF0EM1_AF1EM1_AMAS3_ASE_ASGT_ASLT_ASM_ASAE01_ASCE01_ASEM1_BL1_BS1_CLR1_DTVA0_DTVB0_ETSP_EPS1_ELFLR4_EMLL0_FSSC10_FL0_GLVWA2_GLVWB2_GRCGA1_GRPM1_GRVWn1_GSU8_GSUAMB_GLS0_IU1_K1_LBSPPA512_LBSPPB512_LPA32_LPB32_LRVW4_LWPMn1_MIAV0_MKFGSU256_NTA0_NTB0_NTC0_NTD0_NEPBS16_NLCA1_NLCB1_ONLL1_PGR2_PLR5_PKA0_SIA3_SLW1_SS1_SU0_SUM0_SUS0_SPO0_SRVW0_SSO0_SVW2_TSGRA0_TSGRB0_TT2_32_TLDS0_UMLDSA0_UMLDSB0_USFGROn1_VAW1_VSn1_VW2_VWB2_VFLRP1_WSGRA1_WSGRB0_WG32_8_1_WGM30
  .amdhsa_user_sgpr_kernarg_segment_ptr 1
  .amdhsa_user_sgpr_kernarg_preload_offset 0
  .amdhsa_user_sgpr_kernarg_preload_length 0
  .amdhsa_user_sgpr_count 2
  .amdhsa_accum_offset 256 // accvgpr offset
  .amdhsa_next_free_vgpr 272 // vgprs
  .amdhsa_next_free_sgpr 64 // sgprs
  .amdhsa_group_segment_fixed_size 51200 // lds bytes
  .amdhsa_private_segment_fixed_size 0
  .amdhsa_system_sgpr_workgroup_id_x 1
  .amdhsa_system_sgpr_workgroup_id_y 1
  .amdhsa_system_sgpr_workgroup_id_z 1
  .amdhsa_system_vgpr_workitem_id 0
  .amdhsa_float_denorm_mode_32 3
  .amdhsa_float_denorm_mode_16_64 3
.end_amdhsa_kernel
.text

/******************************************/
/* Optimizations and Config:              */
/******************************************/
/* ThreadTile= 8 x 2 */
/* SubGroup= 8 x 32 */
/* VectorWidthA=2 */
/* VectorWidthB=2 */
/* GlobalLoadVectorWidthA=2, GlobalLoadVectorWidthB=2 */
/* DirectToLdsA=False */
/* DirectToLdsB=False */
/* UseSgprForGRO=False */
.amdgpu_metadata
---
amdhsa.version:
  - 1
  - 1
amdhsa.target: amdgcn-amd-amdhsa--gfx942
amdhsa.kernels:
  - .name: Cijk_Ailk_Bjlk_BBS_BH_MT64x64x64_MI16x16x16x1_SN_1LDSB0_APM1_AF0EM1_AF1EM1_AMAS3_ASE_ASGT_ASLT_ASM_ASAE01_ASCE01_ASEM1_BL1_BS1_CLR1_DTVA0_DTVB0_ETSP_EPS1_ELFLR4_EMLL0_FSSC10_FL0_GLVWA2_GLVWB2_GRCGA1_GRPM1_GRVWn1_GSU8_GSUAMB_GLS0_IU1_K1_LBSPPA512_LBSPPB512_LPA32_LPB32_LRVW4_LWPMn1_MIAV0_MKFGSU256_NTA0_NTB0_NTC0_NTD0_NEPBS16_NLCA1_NLCB1_ONLL1_PGR2_PLR5_PKA0_SIA3_SLW1_SS1_SU0_SUM0_SUS0_SPO0_SRVW0_SSO0_SVW2_TSGRA0_TSGRB0_TT2_32_TLDS0_UMLDSA0_UMLDSB0_USFGROn1_VAW1_VSn1_VW2_VWB2_VFLRP1_WSGRA1_WSGRB0_WG32_8_1_WGM30
    .symbol: 'Cijk_Ailk_Bjlk_BBS_BH_MT64x64x64_MI16x16x16x1_SN_1LDSB0_APM1_AF0EM1_AF1EM1_AMAS3_ASE_ASGT_ASLT_ASM_ASAE01_ASCE01_ASEM1_BL1_BS1_CLR1_DTVA0_DTVB0_ETSP_EPS1_ELFLR4_EMLL0_FSSC10_FL0_GLVWA2_GLVWB2_GRCGA1_GRPM1_GRVWn1_GSU8_GSUAMB_GLS0_IU1_K1_LBSPPA512_LBSPPB512_LPA32_LPB32_LRVW4_LWPMn1_MIAV0_MKFGSU256_NTA0_NTB0_NTC0_NTD0_NEPBS16_NLCA1_NLCB1_ONLL1_PGR2_PLR5_PKA0_SIA3_SLW1_SS1_SU0_SUM0_SUS0_SPO0_SRVW0_SSO0_SVW2_TSGRA0_TSGRB0_TT2_32_TLDS0_UMLDSA0_UMLDSB0_USFGROn1_VAW1_VSn1_VW2_VWB2_VFLRP1_WSGRA1_WSGRB0_WG32_8_1_WGM30.kd'
    .language:                   OpenCL C
    .language_version:
      - 2
      - 0
    .args:
      - .name:            Tensor2dSizeA
        .size:            8
        .offset:          0
        .value_kind:      by_value
        .value_type:      u64
      - .name:            Tensor2dSizeB
        .size:            8
        .offset:          8
        .value_kind:      by_value
        .value_type:      u64
      - .name:            AddressD
        .size:            8
        .offset:          16
        .value_kind:      by_value
        .value_type:      u64
      - .name:            AddressC
        .size:            8
        .offset:          24
        .value_kind:      by_value
        .value_type:      u64
      - .name:            AddressA
        .size:            8
        .offset:          32
        .value_kind:      by_value
        .value_type:      u64
      - .name:            AddressB
        .size:            8
        .offset:          40
        .value_kind:      by_value
        .value_type:      u64
      - .name:            Alpha
        .size:            4
        .offset:          48
        .value_kind:      by_value
        .value_type:      u32
      - .name:            Beta
        .size:            4
        .offset:          52
        .value_kind:      by_value
        .value_type:      u32
      - .name:            StridesD
        .size:            8
        .offset:          56
        .value_kind:      by_value
        .value_type:      u64
      - .name:            StridesC
        .size:            8
        .offset:          64
        .value_kind:      by_value
        .value_type:      u64
      - .name:            StridesA
        .size:            8
        .offset:          72
        .value_kind:      by_value
        .value_type:      u64
      - .name:            StridesB
        .size:            8
        .offset:          80
        .value_kind:      by_value
        .value_type:      u64
      - .name:            SizesFree
        .size:            12
        .offset:          88
        .value_kind:      by_value
        .value_type:      u96
      - .name:            SizesSum
        .size:            4
        .offset:          100
        .value_kind:      by_value
        .value_type:      u32
      - .name:            NumWorkGroups0
        .size:            4
        .offset:          104
        .value_kind:      by_value
        .value_type:      u32
      - .name:            NumWorkGroups1
        .size:            4
        .offset:          108
        .value_kind:      by_value
        .value_type:      u32
      - .name:            NumFullBlocks
        .size:            4
        .offset:          112
        .value_kind:      by_value
        .value_type:      u32
      - .name:            WgmRemainder1
        .size:            4
        .offset:          116
        .value_kind:      by_value
        .value_type:      u32
      - .name:            MagicNumberWgmRemainder1
        .size:            4
        .offset:          120
        .value_kind:      by_value
        .value_type:      u32
    .group_segment_fixed_size:   51200
    .kernarg_segment_align:      8
    .kernarg_segment_size:       128
    .max_flat_workgroup_size:    256
    .private_segment_fixed_size: 0
    .sgpr_count:                 64
    .sgpr_spill_count:           0
    .vgpr_count:                 256
    .vgpr_spill_count:           0
    .wavefront_size:             64
...
.end_amdgpu_metadata
Cijk_Ailk_Bjlk_BBS_BH_MT64x64x64_MI16x16x16x1_SN_1LDSB0_APM1_AF0EM1_AF1EM1_AMAS3_ASE_ASGT_ASLT_ASM_ASAE01_ASCE01_ASEM1_BL1_BS1_CLR1_DTVA0_DTVB0_ETSP_EPS1_ELFLR4_EMLL0_FSSC10_FL0_GLVWA2_GLVWB2_GRCGA1_GRPM1_GRVWn1_GSU8_GSUAMB_GLS0_IU1_K1_LBSPPA512_LBSPPB512_LPA32_LPB32_LRVW4_LWPMn1_MIAV0_MKFGSU256_NTA0_NTB0_NTC0_NTD0_NEPBS16_NLCA1_NLCB1_ONLL1_PGR2_PLR5_PKA0_SIA3_SLW1_SS1_SU0_SUM0_SUS0_SPO0_SRVW0_SSO0_SVW2_TSGRA0_TSGRB0_TT2_32_TLDS0_UMLDSA0_UMLDSB0_USFGROn1_VAW1_VSn1_VW2_VWB2_VFLRP1_WSGRA1_WSGRB0_WG32_8_1_WGM30:

/******************************************/
/* Asm syntax workarounds                 */
/******************************************/
.macro _v_add_co_u32 dst:req, cc:req, src0:req, src1:req, dpp=
   v_add_co_u32 \dst, \cc, \src0, \src1 \dpp
.endm

.macro _v_add_u32 dst:req, src0:req, src1:req, dpp=
   v_add_u32 \dst, \src0, \src1 \dpp
.endm

.macro _v_add_i32 dst:req, src0:req, src1:req, dpp=
   v_add_i32 \dst, \src0, \src1 \dpp
.endm

.macro _v_addc_co_u32 dst:req, ccOut:req, src0:req, ccIn:req, src1:req, dpp=
   v_addc_co_u32 \dst, \ccOut, \src0, \ccIn, \src1 \dpp
.endm

.macro _v_sub_co_u32 dst:req, cc:req, src0:req, src1:req, dpp=
   v_sub_co_u32 \dst, \cc, \src0, \src1 \dpp
.endm

.macro _v_sub_u32 dst:req, src0:req, src1:req, dpp=
   v_sub_u32 \dst, \src0, \src1 \dpp
.endm

.macro _v_sub_i32 dst:req, src0:req, src1:req, dpp=
   v_sub_i32 \dst, \src0, \src1 \dpp
.endm

.macro _v_add_lshl_u32 dst:req, src0:req, src1:req, shiftCnt:req
    v_add_lshl_u32 \dst, \src0, \src1, \shiftCnt
.endm

.macro _v_lshl_add_u32 dst:req, src0:req, src1:req, shiftCnt:req
    v_lshl_add_u32 \dst, \src0, \src1, \shiftCnt
.endm

.macro _v_lshl_or_b32 dst:req, src0:req, shiftCnt:req, src1:req
    v_lshl_or_b32 \dst, \src0, \shiftCnt, \src1
.endm

.macro _v_dot2acc_f32_f16 dst, src0, src1
v_dot2c_f32_f16 \dst, \src0, \src1
.endm

.macro _v_cmpx_lt_i16 dst, src0, src1=
   v_cmpx_lt_i16 \dst, \src0, \src1 
.endm

.macro _v_cmpx_lt_i32 dst, src0, src1=
   v_cmpx_lt_i32 \dst, \src0, \src1 
.endm

.macro _v_cmpx_lt_i64 dst, src0, src1=
   v_cmpx_lt_i64 \dst, \src0, \src1 
.endm

.macro _v_cmpx_lt_u16 dst, src0, src1=
   v_cmpx_lt_u16 \dst, \src0, \src1 
.endm

.macro _v_cmpx_lt_u32 dst, src0, src1=
   v_cmpx_lt_u32 \dst, \src0, \src1 
.endm

.macro _v_cmpx_lt_u64 dst, src0, src1=
   v_cmpx_lt_u64 \dst, \src0, \src1 
.endm

.macro _v_cmpx_eq_i16 dst, src0, src1=
   v_cmpx_eq_i16 \dst, \src0, \src1 
.endm

.macro _v_cmpx_eq_i32 dst, src0, src1=
   v_cmpx_eq_i32 \dst, \src0, \src1 
.endm

.macro _v_cmpx_eq_i64 dst, src0, src1=
   v_cmpx_eq_i64 \dst, \src0, \src1 
.endm

.macro _v_cmpx_eq_u16 dst, src0, src1=
   v_cmpx_eq_u16 \dst, \src0, \src1 
.endm

.macro _v_cmpx_eq_u32 dst, src0, src1=
   v_cmpx_eq_u32 \dst, \src0, \src1 
.endm

.macro _v_cmpx_eq_u64 dst, src0, src1=
   v_cmpx_eq_u64 \dst, \src0, \src1 
.endm

.macro _v_cmpx_le_i16 dst, src0, src1=
   v_cmpx_le_i16 \dst, \src0, \src1 
.endm

.macro _v_cmpx_le_i32 dst, src0, src1=
   v_cmpx_le_i32 \dst, \src0, \src1 
.endm

.macro _v_cmpx_le_i64 dst, src0, src1=
   v_cmpx_le_i64 \dst, \src0, \src1 
.endm

.macro _v_cmpx_le_u16 dst, src0, src1=
   v_cmpx_le_u16 \dst, \src0, \src1 
.endm

.macro _v_cmpx_le_u32 dst, src0, src1=
   v_cmpx_le_u32 \dst, \src0, \src1 
.endm

.macro _v_cmpx_le_u64 dst, src0, src1=
   v_cmpx_le_u64 \dst, \src0, \src1 
.endm

.macro _v_cmpx_gt_i16 dst, src0, src1=
   v_cmpx_gt_i16 \dst, \src0, \src1 
.endm

.macro _v_cmpx_gt_i32 dst, src0, src1=
   v_cmpx_gt_i32 \dst, \src0, \src1 
.endm

.macro _v_cmpx_gt_i64 dst, src0, src1=
   v_cmpx_gt_i64 \dst, \src0, \src1 
.endm

.macro _v_cmpx_gt_u16 dst, src0, src1=
   v_cmpx_gt_u16 \dst, \src0, \src1 
.endm

.macro _v_cmpx_gt_u32 dst, src0, src1=
   v_cmpx_gt_u32 \dst, \src0, \src1 
.endm

.macro _v_cmpx_gt_u64 dst, src0, src1=
   v_cmpx_gt_u64 \dst, \src0, \src1 
.endm

.macro _v_cmpx_ne_i16 dst, src0, src1=
   v_cmpx_ne_i16 \dst, \src0, \src1 
.endm

.macro _v_cmpx_ne_i32 dst, src0, src1=
   v_cmpx_ne_i32 \dst, \src0, \src1 
.endm

.macro _v_cmpx_ne_i64 dst, src0, src1=
   v_cmpx_ne_i64 \dst, \src0, \src1 
.endm

.macro _v_cmpx_ne_u16 dst, src0, src1=
   v_cmpx_ne_u16 \dst, \src0, \src1 
.endm

.macro _v_cmpx_ne_u32 dst, src0, src1=
   v_cmpx_ne_u32 \dst, \src0, \src1 
.endm

.macro _v_cmpx_ne_u64 dst, src0, src1=
   v_cmpx_ne_u64 \dst, \src0, \src1 
.endm

.macro _v_cmpx_lg_i16 dst, src0, src1=
   v_cmpx_lg_i16 \dst, \src0, \src1 
.endm

.macro _v_cmpx_lg_i32 dst, src0, src1=
   v_cmpx_lg_i32 \dst, \src0, \src1 
.endm

.macro _v_cmpx_lg_i64 dst, src0, src1=
   v_cmpx_lg_i64 \dst, \src0, \src1 
.endm

.macro _v_cmpx_lg_u16 dst, src0, src1=
   v_cmpx_lg_u16 \dst, \src0, \src1 
.endm

.macro _v_cmpx_lg_u32 dst, src0, src1=
   v_cmpx_lg_u32 \dst, \src0, \src1 
.endm

.macro _v_cmpx_lg_u64 dst, src0, src1=
   v_cmpx_lg_u64 \dst, \src0, \src1 
.endm

.macro _v_cmpx_ge_i16 dst, src0, src1=
   v_cmpx_ge_i16 \dst, \src0, \src1 
.endm

.macro _v_cmpx_ge_i32 dst, src0, src1=
   v_cmpx_ge_i32 \dst, \src0, \src1 
.endm

.macro _v_cmpx_ge_i64 dst, src0, src1=
   v_cmpx_ge_i64 \dst, \src0, \src1 
.endm

.macro _v_cmpx_ge_u16 dst, src0, src1=
   v_cmpx_ge_u16 \dst, \src0, \src1 
.endm

.macro _v_cmpx_ge_u32 dst, src0, src1=
   v_cmpx_ge_u32 \dst, \src0, \src1 
.endm

.macro _v_cmpx_ge_u64 dst, src0, src1=
   v_cmpx_ge_u64 \dst, \src0, \src1 
.endm

.macro _v_cmpx_o_i16 dst, src0, src1=
   v_cmpx_o_i16 \dst, \src0, \src1 
.endm

.macro _v_cmpx_o_i32 dst, src0, src1=
   v_cmpx_o_i32 \dst, \src0, \src1 
.endm

.macro _v_cmpx_o_i64 dst, src0, src1=
   v_cmpx_o_i64 \dst, \src0, \src1 
.endm

.macro _v_cmpx_o_u16 dst, src0, src1=
   v_cmpx_o_u16 \dst, \src0, \src1 
.endm

.macro _v_cmpx_o_u32 dst, src0, src1=
   v_cmpx_o_u32 \dst, \src0, \src1 
.endm

.macro _v_cmpx_o_u64 dst, src0, src1=
   v_cmpx_o_u64 \dst, \src0, \src1 
.endm

.macro _v_cmpx_u_i16 dst, src0, src1=
   v_cmpx_u_i16 \dst, \src0, \src1 
.endm

.macro _v_cmpx_u_i32 dst, src0, src1=
   v_cmpx_u_i32 \dst, \src0, \src1 
.endm

.macro _v_cmpx_u_i64 dst, src0, src1=
   v_cmpx_u_i64 \dst, \src0, \src1 
.endm

.macro _v_cmpx_u_u16 dst, src0, src1=
   v_cmpx_u_u16 \dst, \src0, \src1 
.endm

.macro _v_cmpx_u_u32 dst, src0, src1=
   v_cmpx_u_u32 \dst, \src0, \src1 
.endm

.macro _v_cmpx_u_u64 dst, src0, src1=
   v_cmpx_u_u64 \dst, \src0, \src1 
.endm
.macro _v_mac_f32 c:req, a:req, b:req
    v_fmac_f32 \c, \a, \b
.endmacro

/* scale global load macros */
.macro _s_load_b32 dst base offset
    s_load_dword \dst \base \offset
.endm

.macro _s_load_b64 dst base offset
    s_load_dwordx2 \dst \base \offset
.endm

.macro _s_load_b128 dst base offset
    s_load_dwordx4 \dst \base \offset
.endm

.macro _s_load_b256 dst base offset
    s_load_dwordx8 \dst \base \offset
.endm

.macro _s_load_b512 dst base offset
    s_load_dwordx16 \dst \base \offset
.endm


/* ds operation macros */
.macro _ds_load_u8 dst src offset
    ds_read_u8 \dst \src \offset
.endm

.macro _ds_load_u8_d16_hi dst src offset
    ds_read_u8_d16_hi \dst \src \offset
.endm

.macro _ds_load_u16 dst src offset
    ds_read_u16 \dst \src \offset
.endm

.macro _ds_load_u16_d16_hi dst src offset
    ds_read_u16_d16_hi \dst \src \offset
.endm

.macro _ds_load_b32 dst src offset
    ds_read_b32 \dst \src \offset
.endm

.macro _ds_load_b64 dst src offset
    ds_read_b64 \dst \src \offset
.endm

.macro _ds_load_b128 dst src offset
    ds_read_b128 \dst \src \offset
.endm

.macro _ds_store_b8 dst src offset
    ds_write_b8 \dst \src \offset
.endm

.macro _ds_store_b8_d16_hi dst src offset
    ds_write_b8_d16_hi \dst \src \offset
.endm

.macro _ds_store_b16 dst src offset
    ds_write_b16 \dst \src \offset
.endm

.macro _ds_store_b16_d16_hi dst src offset
    ds_write_b16_d16_hi \dst \src \offset
.endm

.macro _ds_store_b32 dst src offset
    ds_write_b32 \dst \src \offset
.endm

.macro _ds_store_b64 dst src offset
    ds_write_b64 \dst \src \offset
.endm

.macro _ds_store_b128 dst src offset
    ds_write_b128 \dst \src \offset
.endm

.macro _ds_load2_b32 dst src offset1 offset2
    ds_read2_b32 \dst \src \offset1 \offset2
.endm

.macro _ds_load2_b64 dst src offset1 offset2
    ds_read2_b64 \dst \src \offset1 \offset2
.endm

.macro _ds_store2_b32 dst src offset1 offset2
    ds_write2_b32 \dst \src \offset1 \offset2
.endm

.macro _ds_store2_b64 dst src offset1 offset2
    ds_write2_b64 \dst \src \offset1 \offset2
.endm


/* buffer memory operation macros */
.macro _buffer_load_b32 dst voffset base soffset offen ioffset md0 md1 md2
    buffer_load_dword \dst \voffset \base \soffset \offen \ioffset \md0 \md1 \md2
.endm

.macro _buffer_load_b64 dst voffset base soffset offen ioffset md0 md1 md2
    buffer_load_dwordx2 \dst \voffset \base \soffset \offen \ioffset \md0 \md1 \md2
.endm

.macro _buffer_load_b96 dst voffset base soffset offen ioffset md0 md1 md2
    buffer_load_dwordx3 \dst \voffset \base \soffset \offen \ioffset \md0 \md1 \md2
.endm

.macro _buffer_load_b128 dst voffset base soffset offen ioffset md0 md1 md2
    buffer_load_dwordx4 \dst \voffset \base \soffset \offen \ioffset \md0 \md1 \md2
.endm

.macro _buffer_load_d16_b16 dst voffset base soffset offen ioffset md0 md1 md2
    buffer_load_short_d16 \dst \voffset \base \soffset \offen \ioffset \md0 \md1 \md2
.endm

.macro _buffer_load_d16_hi_b16 dst voffset base soffset offen ioffset md0 md1 md2
    buffer_load_short_d16_hi \dst \voffset \base \soffset \offen \ioffset \md0 \md1 \md2
.endm

.macro _buffer_load_d16_u8 dst voffset base soffset offen ioffset md0 md1 md2
    buffer_load_ubyte_d16 \dst \voffset \base \soffset \offen \ioffset \md0 \md1 \md2
.endm

.macro _buffer_load_d16_hi_u8 dst voffset base soffset offen ioffset md0 md1 md2
    buffer_load_ubyte_d16_hi \dst \voffset \base \soffset \offen \ioffset \md0 \md1 \md2
.endm

.macro _buffer_load_u16 dst voffset base soffset offen ioffset md0 md1 md2
    buffer_load_ushort \dst \voffset \base \soffset \offen \ioffset \md0 \md1 \md2
.endm

.macro _buffer_load_b32_dtl voffset base soffset offen ioffset md0 md1 md2
    buffer_load_dword \voffset \base \soffset \offen \ioffset \md0 \md1 \md2
.endm

.macro _buffer_load_b64_dtl voffset base soffset offen ioffset md0 md1 md2
    buffer_load_dwordx2 \voffset \base \soffset \offen \ioffset \md0 \md1 \md2
.endm

.macro _buffer_load_b128_dtl voffset base soffset offen ioffset md0 md1 md2
    buffer_load_dwordx4 \voffset \base \soffset \offen \ioffset \md0 \md1 \md2
.endm

.macro _buffer_load_u16_dtl voffset base soffset offen ioffset md0 md1 md2
    buffer_load_ushort \voffset \base \soffset \offen \ioffset \md0 \md1 \md2
.endm

.macro _buffer_store_b32 src voffset base soffset offen ioffset md0 md1 md2
    buffer_store_dword \src \voffset \base \soffset \offen \ioffset \md0 \md1 \md2
.endm

.macro _buffer_store_b64 src voffset base soffset offen ioffset md0 md1 md2
    buffer_store_dwordx2 \src \voffset \base \soffset \offen \ioffset \md0 \md1 \md2
.endm

.macro _buffer_store_b96 src voffset base soffset offen ioffset md0 md1 md2
    buffer_store_dwordx3 \src \voffset \base \soffset \offen \ioffset \md0 \md1 \md2
.endm

.macro _buffer_store_b128 src voffset base soffset offen ioffset md0 md1 md2
    buffer_store_dwordx4 \src \voffset \base \soffset \offen \ioffset \md0 \md1 \md2
.endm

.macro _buffer_store_b16 src voffset base soffset offen ioffset md0 md1 md2
    buffer_store_short \src \voffset \base \soffset \offen \ioffset \md0 \md1 \md2
.endm

.macro _buffer_store_d16_hi_b16 src voffset base soffset offen ioffset md0 md1 md2
    buffer_store_short_d16_hi \src \voffset \base \soffset \offen \ioffset \md0 \md1 \md2
.endm

.macro _buffer_store_b8 src voffset base soffset offen ioffset md0 md1 md2
    buffer_store_byte \src \voffset \base \soffset \offen \ioffset \md0 \md1 \md2
.endm

.macro _buffer_store_d16_hi_b8 src voffset base soffset offen ioffset md0 md1 md2
    buffer_store_byte_d16_hi \src \voffset \base \soffset \offen \ioffset \md0 \md1 \md2
.endm

.macro _buffer_atomic_cmpswap_b32 dst voffset base soffset offen ioffset md0 md1 md2
    buffer_atomic_cmpswap \dst \voffset \base \soffset \offen \ioffset \md0 \md1 \md2
.endm

.macro _buffer_atomic_cmpswap_b64 dst voffset base soffset offen ioffset md0 md1 md2
    buffer_atomic_cmpswap_x2 \dst \voffset \base \soffset \offen \ioffset \md0 \md1 \md2
.endm


/* buffer memory operation macros */
.macro _global_load_b32 dst base src ioffset md0 md1 md2
    global_load_dword \dst \base \src \ioffset \md0 \md1 \md2
.endm

.macro _global_load_b64 dst base src ioffset md0 md1 md2
    global_load_dwordx2 \dst \base \src \ioffset \md0 \md1 \md2
.endm

.macro _global_load_b96 dst base src ioffset md0 md1 md2
    global_load_dwordx3 \dst \base \src \ioffset \md0 \md1 \md2
.endm

.macro _global_load_b128 dst base src ioffset md0 md1 md2
    global_load_dwordx4 \dst \base \src \ioffset \md0 \md1 \md2
.endm

.macro _global_load_d16_b16 dst base src ioffset md0 md1 md2
    global_load_short_d16 \dst \base \src \ioffset \md0 \md1 \md2
.endm

.macro _global_load_d16_hi_b16 dst base src ioffset md0 md1 md2
    global_load_short_d16_hi \dst \base \src \ioffset \md0 \md1 \md2
.endm

.macro _global_load_d16_u8 dst base src ioffset md0 md1 md2
    global_load_ubyte_d16 \dst \base \src \ioffset \md0 \md1 \md2
.endm

.macro _global_load_d16_hi_u8 dst base src ioffset md0 md1 md2
    global_load_ubyte_d16_hi \dst \base \src \ioffset \md0 \md1 \md2
.endm

.macro _global_load_u16 dst base src ioffset md0 md1 md2
    global_load_ushort \dst \base \src \ioffset \md0 \md1 \md2
.endm

.macro _global_store_b32 base src src2 md0 md1 md2
    global_store_dword \base \src \src2 \md0 \md1 \md2
.endm

.macro _global_store_b64 base src src2 md0 md1 md2
    global_store_dwordx2 \base \src \src2 \md0 \md1 \md2
.endm

.macro _global_store_b96 base src src2 md0 md1 md2
    global_store_dwordx3 \base \src \src2 \md0 \md1 \md2
.endm

.macro _global_store_b128 base src src2 md0 md1 md2
    global_store_dwordx4 \base \src \src2 \md0 \md1 \md2
.endm

.macro _global_store_d16_b16 base src src2 md0 md1 md2
    global_store_short \base \src \src2 \md0 \md1 \md2
.endm

.macro _global_store_d16_hi_b16 base src src2 md0 md1 md2
    global_store_short_d16_hi \base \src \src2 \md0 \md1 \md2
.endm

.macro _global_store_d16_u8 base src src2 md0 md1 md2
    global_store_ubyte_d16 \base \src \src2 \md0 \md1 \md2
.endm

.macro _global_store_d16_hi_u8 base src src2 md0 md1 md2
    global_store_ubyte_d16_hi \base \src \src2 \md0 \md1 \md2
.endm

.macro _global_store_u16 base src src2 md0 md1 md2
    global_store_ushort \base \src \src2 \md0 \md1 \md2
.endm

.macro _global_atomic_cmpswap_b32 tmp base data src ioffset md
    global_atomic_cmpswap \tmp \base \data \src \ioffset \md
.endm

.macro _global_atomic_cmpswap_b64 tmp base data src ioffset md
    global_atomic_cmpswap_x2 \tmp \base \data \src \ioffset \md
.endm


/******************************************/
/* Magic div and mod functions            */
/******************************************/
.macro V_MAGIC_DIV dstIdx:req, dividend:req, magicNumber:req, magicShift:req, magicA:req
    v_mul_hi_u32 v[\dstIdx+1], \dividend, \magicNumber
    v_mul_lo_u32 v[\dstIdx+0], \dividend, \magicA
    _v_add_u32 v[\dstIdx+0], v[\dstIdx+0], v[\dstIdx+1]
    v_lshrrev_b32 v[\dstIdx+0], \magicShift, v[\dstIdx+0]
.endm

/******************************************/
/* VGPR Assignments                       */
/******************************************/
/* ValuC range: [0-0), serializedStore enabled */
.set vgprValuC, 0
/* ValuA/B   Xn=PLR buffer idx,  In=InnerUnroll idx */
.set vgprValuA_X0_I0, 0
.set vgprValuA_X1_I0, 0
.set vgprValuA_X2_I0, 0
.set vgprValuA_X3_I0, 0
.set vgprValuA_X0_I0_D0, 4
.set vgprValuA_X0_I0_D1, 5
.set vgprValuA_X0_I0_D2, 6
.set vgprValuA_X0_I0_D3, 7
.set vgprValuA_X1_I0_D0, 8
.set vgprValuA_X1_I0_D1, 9
.set vgprValuA_X1_I0_D2, 10
.set vgprValuA_X1_I0_D3, 11
.set vgprValuA_X2_I0_D0, 12
.set vgprValuA_X2_I0_D1, 13
.set vgprValuA_X2_I0_D2, 14
.set vgprValuA_X2_I0_D3, 15
.set vgprValuA_X3_I0_D0, 16
.set vgprValuA_X3_I0_D1, 17
.set vgprValuA_X3_I0_D2, 18
.set vgprValuA_X3_I0_D3, 19
.set vgprG2LA, 58
.set vgprValuB_X0_I0, 20
.set vgprValuB_X1_I0, 20
.set vgprValuB_X2_I0, 20
.set vgprValuB_X3_I0, 20
.set vgprValuB_X0_I0_D0, 24
.set vgprValuB_X0_I0_D1, 25
.set vgprValuB_X0_I0_D2, 26
.set vgprValuB_X0_I0_D3, 27
.set vgprValuB_X1_I0_D0, 28
.set vgprValuB_X1_I0_D1, 29
.set vgprValuB_X1_I0_D2, 30
.set vgprValuB_X1_I0_D3, 31
.set vgprValuB_X2_I0_D0, 32
.set vgprValuB_X2_I0_D1, 33
.set vgprValuB_X2_I0_D2, 34
.set vgprValuB_X2_I0_D3, 35
.set vgprValuB_X3_I0_D0, 36
.set vgprValuB_X3_I0_D1, 37
.set vgprValuB_X3_I0_D2, 38
.set vgprValuB_X3_I0_D3, 39
.set vgprG2LB, 66
.set vgprLocalWriteAddrA, 40
.set vgprLocalWriteAddrB, 41
.set vgprGlobalReadOffsetA, 42
.set vgprGlobalReadOffsetB, 50
.set vgprLocalReadAddrA, 74
.set vgprLocalReadAddrB, 75
.set vgprSerial, 76
/* Num VGPR=256 */
/* Num AccVGPR=16 */

/******************************************/
/* SGPR Assignments                       */
/******************************************/
.set sgprKernArgAddress, 0 // (2)
.set sgprWorkGroup0, 2 // (1)
.set sgprWorkGroup1, 3 // (1)
.set sgprWorkGroup2, 4 // (1)
.set sgprGSUSumIdx, 5 // (2)
.set sgprLoopCounterL, 7 // (1)
.set sgprOrigLoopCounter, 8 // (1)
.set sgprSrdA, 12 // (4)
.set sgprSrdB, 16 // (4)
.set sgprSrdD, 20 // (4)
.set sgprSrdC, 24 // (4)
.set sgprTensor2dSizeA, 28 // (2)
.set sgprTensor2dSizeB, 30 // (2)
.set sgprAddressD, 32 // (2)
.set sgprAddressC, 34 // (2)
.set sgprAddressA, 36 // (2)
.set sgprAddressB, 38 // (2)
.set sgprAlpha, 40 // (1)
.set sgprBeta, 41 // (1)
.set sgprStridesD, 42 // (2)
.set sgprStridesC, 44 // (2)
.set sgprStridesA, 46 // (2)
.set sgprStridesB, 48 // (2)
.set sgprSizesFree, 50 // (3)
.set sgprSizesSum, 53 // (1)
.set sgprNumWorkGroups0, 54 // (1)
.set sgprNumWorkGroups1, 55 // (1)
.set sgprNumFullBlocks, 56 // (1)
.set sgprWgmRemainder1, 57 // (1)
.set sgprMagicNumberWgmRemainder1, 58 // (1)
.set sgprShadowLimitA, 0 // (2)
.set sgprShadowLimitB, 32 // (2)
.set sgprGlobalReadIncsA, 9 // (1)
.set sgprGlobalReadIncsB, 34 // (1)
.set sgprPackKForV0, 35 // (1)
.set sgprPackKForV1, 36 // (1)
/* max SGPR=64 */

/* Size Assignments */
.set sgprSizeI, sgprSizesFree+0
.set sgprSizeJ, sgprSizesFree+1
.set sgprSizeK, sgprSizesFree+2
.set sgprSizeL, sgprSizesSum+0

/* Stride Assignments */
.set constStrideD0I, 1
.set sgprStrideD1J, sgprStridesD+0
.set sgprStrideDK, sgprStridesD+1
.set constStrideC0I, 1
.set sgprStrideC1J, sgprStridesC+0
.set sgprStrideCK, sgprStridesC+1
.set constStrideA0I, 1
.set sgprStrideAL, sgprStridesA+0
.set sgprStrideAK, sgprStridesA+1
.set constStrideB1J, 1
.set sgprStrideBL, sgprStridesB+0
.set sgprStrideBK, sgprStridesB+1

.set MT0, 64
.set MT1, 64
.set DepthU, 64
.set GSU, 8
.set BpeA, 2
.set BpeALog2, 1
.set BpeB, 2
.set BpeBLog2, 1
/* Number of elements to shift-left SRD */
.set SrdShiftLeftA, 2
.set SrdShiftLeftB, 2
/* 2GB limit - set offsets to -1 to exceed this and clamp */
.set BufferLimitA, 0xffffffff
.set BufferLimitB, 0xffffffff
.set BufferOOB, 0xfffff000

/******************************************/
/* Bits 127:96 of SRD.                    */
/* hex: 0x00020000                        */
/* dst_sel_x (3b): 0                      */
/* dst_sel_y (3b): 0                      */
/* dst_sel_z (3b): 0                      */
/* dst_sel_w (3b): 0                      */
/* num_format (3b): 0                     */
/* data_format (4b): 4                    */
/* user_vm_enable (1b): 0                 */
/* user_vm_mode (1b): 0                   */
/* index_stride (2b): 0                   */
/* add_tid_enable (1b): 0                 */
/* _unusedA (3b): 0                       */
/* nv (1b): 0                             */
/* _unusedB (2b): 0                       */
/* type (2b): 0                           */
/******************************************/
.set Srd127_96, 0x00020000

/* Global Offset A */
.macro GLOBAL_OFFSET_A vgprAddr:req vgprOffset0I:req vgprOffsetL:req vgprTmp:req
v_mul_lo_u32 v[\vgprTmp+0], s[sgprStrideAL], v[\vgprOffsetL] // mul d1 lower
_v_add_co_u32 v[\vgprAddr+0], vcc, v[\vgprOffset0I], v[\vgprTmp+0] // accumulate K lower
_v_add_u32 v[\vgprAddr+0], 0x2, v[\vgprAddr+0]     // add prepad for pointer shift
v_lshlrev_b32 v[\vgprAddr+0], 0x1, v[\vgprAddr+0]  // offset *= bytes/element
.endm

/* Global Offset B */
.macro GLOBAL_OFFSET_B vgprAddr:req vgprOffset1J:req vgprOffsetL:req vgprTmp:req
v_mul_lo_u32 v[\vgprTmp+0], s[sgprStrideBL], v[\vgprOffsetL] // mul d1 lower
_v_add_co_u32 v[\vgprAddr+0], vcc, v[\vgprOffset1J], v[\vgprTmp+0] // accumulate K lower
_v_add_u32 v[\vgprAddr+0], 0x2, v[\vgprAddr+0]     // add prepad for pointer shift
v_lshlrev_b32 v[\vgprAddr+0], 0x1, v[\vgprAddr+0]  // offset *= bytes/element
.endm

/******************************************/
/* Dynamic Scalar Divide: vQuotient=vDividend/vDivisor; vRemainder=vDividend%vDivisor; */
/******************************************/
.macro DYNAMIC_VECTOR_DIVIDE vQuotient vRemainder vDividend vDivisor vTmp0 vTmp1 sTmp
v_cvt_f32_u32 v[\vQuotient], v[\vDivisor]          // 
v_rcp_f32 v[\vQuotient], v[\vQuotient]             // 
v_mul_f32 v[\vQuotient], 0x4f800000, v[\vQuotient] // 
v_cvt_u32_f32 v[\vQuotient], v[\vQuotient]         // 
v_mul_lo_u32 v[\vRemainder], v[\vDivisor], v[\vQuotient] // 
v_mul_hi_u32 v[\vTmp0], v[\vDivisor], v[\vQuotient] // 
_v_sub_co_u32 v[\vTmp1], vcc, 0x0, v[\vRemainder]  // 
v_cmp_ne_i32 s[\sTmp:\sTmp+1], 0x0, v[\vTmp0]      // 
v_cndmask_b32 v[\vRemainder], v[\vTmp1], v[\vRemainder], s[\sTmp:\sTmp+1] // 
v_mul_hi_u32 v[\vRemainder], v[\vRemainder], v[\vQuotient] // 
_v_sub_co_u32 v[\vTmp0], vcc, v[\vQuotient], v[\vRemainder] // 
_v_add_co_u32 v[\vQuotient], vcc, v[\vQuotient], v[\vRemainder] // 
v_cndmask_b32 v[\vQuotient], v[\vQuotient], v[\vTmp0], s[\sTmp:\sTmp+1] // 
v_mul_hi_u32 v[\vQuotient], v[\vQuotient], v[\vDividend] // 
v_mul_lo_u32 v[\vRemainder], v[\vQuotient], v[\vDivisor] // 
_v_sub_co_u32 v[\vTmp0], vcc, v[\vDividend], v[\vRemainder] // 
v_cmp_ge_u32 s[\sTmp:\sTmp+1], v[\vDividend], v[\vRemainder] // 
_v_add_co_u32 v[\vRemainder], vcc, 0x1, v[\vQuotient] // 
_v_add_co_u32 v[\vTmp1], vcc, -1, v[\vQuotient]    // 
v_cmp_le_u32 vcc, v[\vDivisor], v[\vTmp0]          // 
s_and_b64 vcc, s[\sTmp:\sTmp+1], vcc               // 
v_cndmask_b32 v[\vQuotient], v[\vQuotient], v[\vRemainder], vcc // 
v_cndmask_b32 v[\vQuotient], v[\vTmp1], v[\vQuotient], s[\sTmp:\sTmp+1] // 
v_cmp_ne_i32 vcc, 0x0, v[\vDivisor]                // 
v_cndmask_b32 v[\vQuotient], -1, v[\vQuotient], vcc // final result
v_mul_lo_u32 v[\vRemainder], v[\vQuotient], v[\vDivisor] // 
_v_sub_co_u32 v[\vRemainder], vcc, v[\vDividend], v[\vRemainder] // final result
.endm


	;; [unrolled: 1-line block ×3, first 2 shown]
/******************************************/
/* Allocate Resources                     */
/******************************************/

Cijk_Ailk_Bjlk_BBS_BH_MT64x64x64_MI16x16x16x1_SN_1LDSB0_APM1_AF0EM1_AF1EM1_AMAS3_ASE_ASGT_ASLT_ASM_ASAE01_ASCE01_ASEM1_BL1_BS1_CLR1_DTVA0_DTVB0_ETSP_EPS1_ELFLR4_EMLL0_FSSC10_FL0_GLVWA2_GLVWB2_GRCGA1_GRPM1_GRVWn1_GSU8_GSUAMB_GLS0_IU1_K1_LBSPPA512_LBSPPB512_LPA32_LPB32_LRVW4_LWPMn1_MIAV0_MKFGSU256_NTA0_NTB0_NTC0_NTD0_NEPBS16_NLCA1_NLCB1_ONLL1_PGR2_PLR5_PKA0_SIA3_SLW1_SS1_SU0_SUM0_SUS0_SPO0_SRVW0_SSO0_SVW2_TSGRA0_TSGRB0_TT2_32_TLDS0_UMLDSA0_UMLDSB0_USFGROn1_VAW1_VSn1_VW2_VWB2_VFLRP1_WSGRA1_WSGRB0_WG32_8_1_WGM30_preloaded: // Kernel start when preloading

/* Load Kernel Args */
_s_load_b512 s[28:43], s[sgprKernArgAddress:sgprKernArgAddress+1], 0x0 // 
_s_load_b256 s[44:51], s[sgprKernArgAddress:sgprKernArgAddress+1], 0x40 // 
_s_load_b128 s[52:55], s[sgprKernArgAddress:sgprKernArgAddress+1], 0x60 // 
_s_load_b64 s[56:57], s[sgprKernArgAddress:sgprKernArgAddress+1], 0x70 // 
_s_load_b32 s58, s[sgprKernArgAddress:sgprKernArgAddress+1], 0x78 // 
s_mov_b32 m0, 0xc800                               // LDS clamp at 51200 bytes
v_mov_b32 v[vgprSerial], v0                        // thread serial id

/******************************************/
/* Local Read Addresses                   */
/******************************************/


/* local read addresses: tile assignments a/b */

/*lr0I*/
v_and_b32 v1, 63, v[vgprSerial]                    // 0. thread id in wave: wtid = tid % wavelength(64)
v_and_b32 v0, 15, v1                               // 1. N offset: nIdx = wtid % MI_N(16)
                                                   // 1. N offset: nOffset = nIdx * nStride(1) (multiplier is 1, do nothing)
                                                   // 2. block offset: bnIdx = bnIdx % num1DBlocks(1) is 0. do nothing
v_lshlrev_b32 v0, 0x1, v0                          // 4. apply VectorWidth: bnOffset = bnOffset * vw(2)
v_lshrrev_b32 v1, 4, v1                            // 5. K offset: kIdx = wtid / (MIN(16) * MIBB(1))
v_lshlrev_b32 v1, 0x8, v1                          // 5. K offset: lrKOffset = kIdx * mStride(256)
_v_add_u32 v0, v1, v0                              // 6. offset in wave: lrOffset = bnOffset + lrKOffset
v_lshrrev_b32 v2, 6, v[vgprSerial]                 // 7. wave offset in N dimen: wtid = tid / dividedForWaveId(64)
v_and_b32 v1, 1, v2                                // 7. wave offset in M dimen: wtid0 = wtid / num1DWaves(2)
v_lshlrev_b32 v1, 0x5, v1                          // 7. wave offset in M dimen: wOffset = wtid0 * W0Stride(32)
_v_add_u32 v0, v1, v0                              // 8. final local read offset: flrOffset = lrOffset + WOffset
/*lr1J*/
v_and_b32 v2, 63, v[vgprSerial]                    // 0. thread id in wave: wtid = tid % wavelength(64)
v_and_b32 v1, 15, v2                               // 1. N offset: nIdx = wtid % MI_N(16)
                                                   // 1. N offset: nOffset = nIdx * nStride(1) (multiplier is 1, do nothing)
                                                   // 2. block offset: bnIdx = bnIdx % num1DBlocks(1) is 0. do nothing
v_lshlrev_b32 v1, 0x1, v1                          // 4. apply VectorWidth: bnOffset = bnOffset * vw(2)
v_lshrrev_b32 v2, 4, v2                            // 5. K offset: kIdx = wtid / (MIN(16) * MIBB(1))
v_lshlrev_b32 v2, 0x8, v2                          // 5. K offset: lrKOffset = kIdx * mStride(256)
_v_add_u32 v1, v2, v1                              // 6. offset in wave: lrOffset = bnOffset + lrKOffset
v_lshrrev_b32 v3, 7, v[vgprSerial]                 // 7. wave offset in N dimen: wtid = tid / dividedForWaveId(128)
v_and_b32 v2, 1, v3                                // 7. wave offset in M dimen: wtid0 = wtid / num1DWaves(2)
v_lshlrev_b32 v2, 0x5, v2                          // 7. wave offset in M dimen: wOffset = wtid0 * W0Stride(32)
_v_add_u32 v1, v2, v1                              // 8. final local read offset: flrOffset = lrOffset + WOffset


/* local read addresses: final offsets a */

v_lshlrev_b32 v[vgprLocalReadAddrA], 0x1, v0       // Final Offset: offset = (lro0)*bpe
v_lshrrev_b32 v0, 9, v[vgprLocalReadAddrA]         // Final Offset: padding 32 per block 512
v_lshlrev_b32 v0, 0x6, v0                          // Final Offset: padding 32 per block 512
_v_add_u32 v[vgprLocalReadAddrA], v0, v[vgprLocalReadAddrA] // Final Offset: add padding 32 per block 512


/* local read addresses: final offsets b */

v_lshlrev_b32 v[vgprLocalReadAddrB], 0x1, v1       // Final Offset: offset = (lro1)*bpe
v_lshrrev_b32 v0, 9, v[vgprLocalReadAddrB]         // Final Offset: padding 32 per block 512
v_lshlrev_b32 v0, 0x6, v0                          // Final Offset: padding 32 per block 512
_v_add_u32 v[vgprLocalReadAddrB], v0, v[vgprLocalReadAddrB] // Final Offset: add padding 32 per block 512


/* local read addresses: declare addresses a */

/* N/A */


/* local read addresses: declare addresses b */

_v_add_co_u32 v[vgprLocalReadAddrB+0], vcc, 0x2400, v[vgprLocalReadAddrB+0] //  += LdsOffsetB (lower)


/* global read addresses: tile offset assignment a */

/* LVCA = 32 */
/* v0 = (local)groA-tile = serial%LVCA (note (wgA*MTA) will be added to SRD) */
/* v1 = groA-unroll = serial/LVCA */
v_and_b32 v2, 63, v[vgprSerial]                    // v2 = v[vgprSerial] % 64
v_lshrrev_b32 v1, 5, v2                            // v1 = v2 / 32
v_and_b32 v0, 31, v2                               // v0 = v2 % 32
v_readfirstlane_b32 s10, v[vgprSerial]             // WaveIdxWavefrontWidth
s_lshr_b32 s10, s10, 0x6                           // WaveId
s_mul_i32 s10, s10, 16                             // Global Read Wave: each wave loads continuous lsp(2)*nrp(8) columns
_v_add_u32 v1, s10, v1                             // Global Read Wave: add back to column index
/* gro-tile *= glvw */
v_lshlrev_b32 v0, 0x1, v0                          // v0 = v0 * 2
v_mov_b32 v2, v1                                   // copy for GlobalSplitU


/* global read addresses: tile offset assignment b */

/* LVCB = 32 */
/* v3 = (local)groB-tile = serial%LVCB (note (wgB*MTB) will be added to SRD) */
/* v4 = groB-unroll = serial/LVCB */
v_lshrrev_b32 v4, 5, v[vgprSerial]                 // v4 = v[vgprSerial] / 32
v_and_b32 v3, 31, v[vgprSerial]                    // v3 = v[vgprSerial] % 32
/* gro-tile *= glvw */
v_lshlrev_b32 v3, 0x1, v3                          // v3 = v3 * 2
v_mov_b32 v5, v4                                   // copy for GlobalSplitU


/******************************************/
/* Local Write Addresses                  */
/******************************************/

/* lwaTileAssignmentA = v0 */

/* lwaTileAssignmentB = v3 */

/* lwaUnrollAssignmentA = v2 */

/* lwaUnrollAssignmentB = v5 */


/* local write addresses: first offset a */

v_mul_u32_u24 v[vgprLocalWriteAddrA], 0x40, v2     // lwAL**(MTA + PAD)
_v_add_lshl_u32 v[vgprLocalWriteAddrA], v0, v[vgprLocalWriteAddrA], 0x1 // lwFOA = (lwAA + lwAL*(MT0I+PAD))*bpe
v_lshrrev_b32 v6, 9, v[vgprLocalWriteAddrA]        // padding 32 per block 512
v_lshlrev_b32 v6, 0x6, v6                          // padding 32 per block 512
_v_add_u32 v[vgprLocalWriteAddrA], v6, v[vgprLocalWriteAddrA] // add padding 32 per block 512


/* local write addresses: first offset b */

v_mul_u32_u24 v[vgprLocalWriteAddrB], 0x40, v5     // lwBL**(MTB + PAD)
_v_add_lshl_u32 v[vgprLocalWriteAddrB], v3, v[vgprLocalWriteAddrB], 0x1 // lwFOB = (lwBB + lwBL*(MT1J+PAD))*bpe
v_lshrrev_b32 v6, 9, v[vgprLocalWriteAddrB]        // padding 32 per block 512
v_lshlrev_b32 v6, 0x6, v6                          // padding 32 per block 512
_v_add_u32 v[vgprLocalWriteAddrB], v6, v[vgprLocalWriteAddrB] // add padding 32 per block 512
_v_add_co_u32 v[vgprLocalWriteAddrB], vcc, 0x2400, v[vgprLocalWriteAddrB] // lwFOB = lwB1J + lwBL*MT1J + LDS_OFFSET_B=4608*2







s_waitcnt lgkmcnt(0)                               // wait for 124 bytes of kern args
s_mov_b64 s[sgprSrdC+0:sgprSrdC+0+1], s[sgprAddressC+0:sgprAddressC+0+1] // copy addressC
s_mov_b64 s[sgprSrdD+0:sgprSrdD+0+1], s[sgprAddressD+0:sgprAddressD+0+1] // copy addressD
s_sub_u32 s[sgprSrdA+0], s[sgprAddressA+0], 4      // pre-pad to make room for possible pointer shift
s_subb_u32 s[sgprSrdA+1], s[sgprAddressA+1], 0     // pre-pad to make room for possible pointer shift
s_sub_u32 s[sgprSrdB+0], s[sgprAddressB+0], 4      // pre-pad to make room for possible pointer shift
s_subb_u32 s[sgprSrdB+1], s[sgprAddressB+1], 0     // pre-pad to make room for possible pointer shift

.set AddressD, UNDEF
.set AddressC, UNDEF
.set AddressA, UNDEF
.set AddressB, UNDEF

/* Short circuit condition if Alpha == 0, then sumDims=0 */
v_cmp_eq_f32 vcc, s[sgprAlpha], 0.0                // Alpha == 0.0f ?
s_cbranch_vccz label_AlphaNonZero                  // branch if alpha != 0
s_mov_b32 s[sgprSizesSum+0], 0x0                   // Set summation dim=0 if Alpha == 0
label_AlphaNonZero:
s_mov_b32 s[sgprPackKForV0], 0x05040100            // half pack value 0 for v_perm_b32
s_mov_b32 s[sgprPackKForV1], 0x07060302            // half pack value 1 for v_perm_b32


	;; [unrolled: 1-line block ×3, first 2 shown]
/******************************************/
/* Begin setupNewTile, isPap=False           */
/******************************************/


/* global read addresses: work-group */

/* graWorkGroup mapping */
// GSU-not-WGMapRR :nwg1 = (size1J + MT1J - 1) / MT1J;
s_mov_b32 s62, s[sgprWorkGroup1]                   // copying for divisor
s_lshr_b32 s[sgprWorkGroup1], s62, 3               // s[sgprWorkGroup1] = s62 / 8
s_and_b32 s[sgprGSUSumIdx], 7, s62                 // s[sgprGSUSumIdx] = s62 % 8
s_mov_b32 s63, 0x4444445L                          // magic number for WGM==30
s_mul_hi_u32 s61, s[sgprWorkGroup1], s63           // s_magic mul
s_mul_i32 s60, s[sgprWorkGroup1], s63              // s_magic mul
s_lshr_b64 s[60:61], s[60:61], 31                  // sMagicDiv
s_mul_i32 s61, s60, 30                             // quotient * non-magic divisor
s_sub_u32 s61, s[sgprWorkGroup1], s61              // WorkGroup1=remainder
s_mul_i32 s61, s61, s[sgprNumWorkGroups0]          // (wg1 % WGM)*nwg0
s_add_u32 s61, s61, s[sgprWorkGroup0]              // wgSerial = wg0 + (wg1 % WGM)*nwg1
s_cmp_ge_u32 s60, s[sgprNumFullBlocks]             // blockId >= numFullBlocks ?
s_cmov_b32 s63, s[sgprMagicNumberWgmRemainder1]    // 
s_cselect_b32 s62, s[sgprWgmRemainder1], 30        // 
s_mul_hi_u32 s3, s61, s63                          // s_magic mul
s_mul_i32 s2, s61, s63                             // s_magic mul
s_lshr_b64 s[2:3], s[2:3], 31                      // sMagicDiv
s_mul_i32 s[sgprWorkGroup1], s[sgprWorkGroup0], s62 // quotient * non-magic divisor
s_sub_u32 s[sgprWorkGroup1], s61, s[sgprWorkGroup1] // WorkGroup1=remainder
s_mul_i32 s60, s60, 30                             // blockId * WGM
s_add_u32 s[sgprWorkGroup1], s[sgprWorkGroup1], s60 // wg1 += blockId * WGM


/* global read addresses: unroll assignment a */

/* v1 */


/* global read addresses: unroll assignment b */

/* v4 */


/* global read addresses: other free assignments */

/* s[sgprWorkGroup2] */


/* global read addresses: tile offsets a */

v_mov_b32 v6, v0                                   // groA0I_0


/* global read addresses: tile offsets b */

v_mov_b32 v7, v3                                   // groB1J_0


/* global read addresses: unroll offsets a */

v_mov_b32 v8, v1                                   // groAL_0
_v_add_co_u32 v9, vcc, 2, v8                       // groAL_1 + LSPA
_v_add_co_u32 v10, vcc, 2, v9                      // groAL_2 + LSPA
_v_add_co_u32 v11, vcc, 2, v10                     // groAL_3 + LSPA
_v_add_co_u32 v12, vcc, 2, v11                     // groAL_4 + LSPA
_v_add_co_u32 v13, vcc, 2, v12                     // groAL_5 + LSPA
_v_add_co_u32 v14, vcc, 2, v13                     // groAL_6 + LSPA
_v_add_co_u32 v15, vcc, 2, v14                     // groAL_7 + LSPA


/* global read addresses: unroll offsets b */

v_mov_b32 v16, v4                                  // groBL_0
_v_add_co_u32 v17, vcc, 8, v16                     // groBL_1 + LSPB
_v_add_co_u32 v18, vcc, 8, v17                     // groBL_2 + LSPB
_v_add_co_u32 v19, vcc, 8, v18                     // groBL_3 + LSPB
_v_add_co_u32 v20, vcc, 8, v19                     // groBL_4 + LSPB
_v_add_co_u32 v21, vcc, 8, v20                     // groBL_5 + LSPB
_v_add_co_u32 v22, vcc, 8, v21                     // groBL_6 + LSPB
_v_add_co_u32 v23, vcc, 8, v22                     // groBL_7 + LSPB


/* global read addresses: shift a */

s_mul_i32 s37, s[sgprWorkGroup0], 64               // WorkGroup[01] * MT
s_sub_u32 s37, s[sgprSizeI], s37                   // edge = Size0I - WG*MT
s_sub_u32 s37, s37, 2                              // edge -= margin(2)
v_mov_b32 v24, s37                                 // edge vgpr = Size0I- WG*MT - margin(2)
v_min_i32 v6, v24, v6                              // offset = (offset < edge) ? offset(v6) : edge(v24)


/* global read addresses: shift b */

s_mul_i32 s37, s[sgprWorkGroup1], 64               // WorkGroup[01] * MT
s_sub_u32 s37, s[sgprSizeJ], s37                   // edge = Size1J - WG*MT
s_sub_u32 s37, s37, 2                              // edge -= margin(2)
v_mov_b32 v24, s37                                 // edge vgpr = Size1J- WG*MT - margin(2)
v_min_i32 v7, v24, v7                              // offset = (offset < edge) ? offset(v7) : edge(v24)


/* global read addresses: final offsets a */

GLOBAL_OFFSET_A vgprGlobalReadOffsetA+0,  6,  8, 24 // gROA_0_0_0_0
GLOBAL_OFFSET_A vgprGlobalReadOffsetA+1,  6,  9, 24 // gROA_0_0_1_0
GLOBAL_OFFSET_A vgprGlobalReadOffsetA+2,  6, 10, 24 // gROA_0_0_2_0
GLOBAL_OFFSET_A vgprGlobalReadOffsetA+3,  6, 11, 24 // gROA_0_0_3_0
GLOBAL_OFFSET_A vgprGlobalReadOffsetA+4,  6, 12, 24 // gROA_0_0_4_0
GLOBAL_OFFSET_A vgprGlobalReadOffsetA+5,  6, 13, 24 // gROA_0_0_5_0
GLOBAL_OFFSET_A vgprGlobalReadOffsetA+6,  6, 14, 24 // gROA_0_0_6_0
GLOBAL_OFFSET_A vgprGlobalReadOffsetA+7,  6, 15, 24 // gROA_0_0_7_0


/* global read addresses: final offsets b */

GLOBAL_OFFSET_B vgprGlobalReadOffsetB+0,  7, 16, 8 // gROB_0_0_0_0
GLOBAL_OFFSET_B vgprGlobalReadOffsetB+1,  7, 17, 8 // gROB_0_0_1_0
GLOBAL_OFFSET_B vgprGlobalReadOffsetB+2,  7, 18, 8 // gROB_0_0_2_0
GLOBAL_OFFSET_B vgprGlobalReadOffsetB+3,  7, 19, 8 // gROB_0_0_3_0
GLOBAL_OFFSET_B vgprGlobalReadOffsetB+4,  7, 20, 8 // gROB_0_0_4_0
GLOBAL_OFFSET_B vgprGlobalReadOffsetB+5,  7, 21, 8 // gROB_0_0_5_0
GLOBAL_OFFSET_B vgprGlobalReadOffsetB+6,  7, 22, 8 // gROB_0_0_6_0
GLOBAL_OFFSET_B vgprGlobalReadOffsetB+7,  7, 23, 8 // gROB_0_0_7_0


/* global read addresses: addresses a */

/* max read offset = size[n] * stride[n-1] */
s_mul_hi_u32 s61, s[sgprWorkGroup0], 64            // WorkGroup[01] * MT
s_mul_i32 s60, s[sgprWorkGroup0], 64               // WorkGroup[01] * MT
s_mul_hi_u32 s39, 64, s[sgprGSUSumIdx]             // gsuOffset = DepthU*bpe*GSUSumIdx
s_mul_i32 s38, 64, s[sgprGSUSumIdx]                // gsuOffset = DepthU*bpe*GSUSumIdx
s_mul_hi_u32 s39, s38, s[sgprStrideAL]             // tlu=1, scaled unroll-offset by stride
s_mul_i32 s38, s38, s[sgprStrideAL]                // tlu=1, scaled unroll-offset by stride
s_add_u32 s60, s60, s38                            // accum GsuOffset term to tilestart
s_addc_u32 s61, s61, s39                           // accum GsuOffset term to tilestart
s_sub_u32 s[sgprShadowLimitA+0], s[sgprTensor2dSizeA], s60 // sub tileStart
s_subb_u32 s[sgprShadowLimitA+1], s[sgprTensor2dSizeA+1], s61 // sub tileStart
s_lshl_b64 s[sgprShadowLimitA:sgprShadowLimitA+1], s[sgprShadowLimitA:sgprShadowLimitA+1], 0x1 // Set limit to use bytes
s_add_u32 s[sgprShadowLimitA+0], s[sgprShadowLimitA+0], 4 // extend limit for pre-pad
s_addc_u32 s[sgprShadowLimitA+1], s[sgprShadowLimitA+1], 0 // extend limit for pre-pad
s_cmp_eq_u32 s[sgprShadowLimitA+1], 0              // are we within 2^32?
s_cselect_b32 s[sgprSrdA+2], s[sgprShadowLimitA+0], BufferLimitA // Move shadow to real if we are within 2^32
s_mul_hi_u32 s39, s[sgprStrideAK], s[sgprWorkGroup2] // Stride*WG
s_mul_i32 s38, s[sgprStrideAK], s[sgprWorkGroup2]  // Stride*WG
s_add_u32 s60, s60, s38                            // accum wg term to tilestart
s_addc_u32 s61, s61, s39                           // accum wg term to tilestart
s_lshl_b64 s[60:61], s[60:61], 0x1                 // tileStart *= BPE
s_add_u32 s[sgprSrdA+0], s[sgprSrdA+0], s60        // SRD base = Address+ tileStart0
s_addc_u32 s[sgprSrdA+1], s[sgprSrdA+1], s61       // SRD base = Address+ tileStart1
s_mov_b32 s[sgprSrdA+3], Srd127_96                 // Set bits 127_96 in SRD


/* global read addresses: addresses b */

/* max read offset = size[n] * stride[n-1] */
s_mul_hi_u32 s61, s[sgprWorkGroup1], 64            // WorkGroup[01] * MT
s_mul_i32 s60, s[sgprWorkGroup1], 64               // WorkGroup[01] * MT
s_mul_hi_u32 s39, 64, s[sgprGSUSumIdx]             // gsuOffset = DepthU*bpe*GSUSumIdx
s_mul_i32 s38, 64, s[sgprGSUSumIdx]                // gsuOffset = DepthU*bpe*GSUSumIdx
s_mul_hi_u32 s39, s38, s[sgprStrideBL]             // tlu=1, scaled unroll-offset by stride
s_mul_i32 s38, s38, s[sgprStrideBL]                // tlu=1, scaled unroll-offset by stride
s_add_u32 s60, s60, s38                            // accum GsuOffset term to tilestart
s_addc_u32 s61, s61, s39                           // accum GsuOffset term to tilestart
s_sub_u32 s[sgprShadowLimitB+0], s[sgprTensor2dSizeB], s60 // sub tileStart
s_subb_u32 s[sgprShadowLimitB+1], s[sgprTensor2dSizeB+1], s61 // sub tileStart
s_lshl_b64 s[sgprShadowLimitB:sgprShadowLimitB+1], s[sgprShadowLimitB:sgprShadowLimitB+1], 0x1 // Set limit to use bytes
s_add_u32 s[sgprShadowLimitB+0], s[sgprShadowLimitB+0], 4 // extend limit for pre-pad
s_addc_u32 s[sgprShadowLimitB+1], s[sgprShadowLimitB+1], 0 // extend limit for pre-pad
s_cmp_eq_u32 s[sgprShadowLimitB+1], 0              // are we within 2^32?
s_cselect_b32 s[sgprSrdB+2], s[sgprShadowLimitB+0], BufferLimitB // Move shadow to real if we are within 2^32
s_mul_hi_u32 s39, s[sgprStrideBK], s[sgprWorkGroup2] // Stride*WG
s_mul_i32 s38, s[sgprStrideBK], s[sgprWorkGroup2]  // Stride*WG
s_add_u32 s60, s60, s38                            // accum wg term to tilestart
s_addc_u32 s61, s61, s39                           // accum wg term to tilestart
s_lshl_b64 s[60:61], s[60:61], 0x1                 // tileStart *= BPE
s_add_u32 s[sgprSrdB+0], s[sgprSrdB+0], s60        // SRD base = Address+ tileStart0
s_addc_u32 s[sgprSrdB+1], s[sgprSrdB+1], s61       // SRD base = Address+ tileStart1
s_mov_b32 s[sgprSrdB+3], Srd127_96                 // Set bits 127_96 in SRD


/* global read addresses: increments a */

s_mul_i32 s[sgprGlobalReadIncsA+0], DepthU*BpeA*8, s[sgprStrideAL] // incrA unrollIdx)


/* global read addresses: increments b */

s_mul_i32 s[sgprGlobalReadIncsB+0], DepthU*BpeB*8, s[sgprStrideBL] // incrB unrollIdx)

/* declare loop num iterations */


s_lshr_b32 s[sgprLoopCounterL], s[sgprSizesSum+0], 6 // s[sgprLoopCounterL] = s[sgprSizesSum+0] / 64
s_mov_b32 s62, s[sgprLoopCounterL]                 // copy for divide IterGsu
s_lshr_b32 s[sgprLoopCounterL], s62, 3             // s[sgprLoopCounterL] = s62 / 8
s_and_b32 s[sgprGSUSumIdx+1], 7, s62               // s[sgprGSUSumIdx+1] = s62 % 8
s_add_u32 s60, 1, s[sgprLoopCounterL]              // tmp<-numIterMyWg+
s_cmp_lt_u32 s[sgprGSUSumIdx], s[sgprGSUSumIdx+1]  // gsuSumIdx < numIterPerWgRemainder
s_cmov_b32 s[sgprLoopCounterL], s60                // numIterMyWg++ if needed
s_mov_b32 s[sgprOrigLoopCounter], s[sgprLoopCounterL] // copy loop counter

/* local read addresses: init pointers a */


/* localReadInitPointers */

/* local read addresses: init pointers b */


/* localReadInitPointers */


/* prefetch: global -> local */

s_cmp_eq_u32 s[sgprLoopCounterL], 0                // at last iteration?
s_cbranch_scc1 ShadowInitStart_10                  // skip to ShadowInitStart iter b/c numIter==0


_buffer_load_b32 v[vgprG2LA+0], v[vgprGlobalReadOffsetA+0], s[sgprSrdA:sgprSrdA+3], 0, offen offset:0 // G -> Reg 0_0_0_0
_buffer_load_b32 v[vgprG2LA+1], v[vgprGlobalReadOffsetA+1], s[sgprSrdA:sgprSrdA+3], 0, offen offset:0 // G -> Reg 0_0_1_0
_buffer_load_b32 v[vgprG2LA+2], v[vgprGlobalReadOffsetA+2], s[sgprSrdA:sgprSrdA+3], 0, offen offset:0 // G -> Reg 0_0_2_0
_buffer_load_b32 v[vgprG2LA+3], v[vgprGlobalReadOffsetA+3], s[sgprSrdA:sgprSrdA+3], 0, offen offset:0 // G -> Reg 0_0_3_0
_buffer_load_b32 v[vgprG2LA+4], v[vgprGlobalReadOffsetA+4], s[sgprSrdA:sgprSrdA+3], 0, offen offset:0 // G -> Reg 0_0_4_0
_buffer_load_b32 v[vgprG2LA+5], v[vgprGlobalReadOffsetA+5], s[sgprSrdA:sgprSrdA+3], 0, offen offset:0 // G -> Reg 0_0_5_0
_buffer_load_b32 v[vgprG2LA+6], v[vgprGlobalReadOffsetA+6], s[sgprSrdA:sgprSrdA+3], 0, offen offset:0 // G -> Reg 0_0_6_0
_buffer_load_b32 v[vgprG2LA+7], v[vgprGlobalReadOffsetA+7], s[sgprSrdA:sgprSrdA+3], 0, offen offset:0 // G -> Reg 0_0_7_0


_buffer_load_b32 v[vgprG2LB+0], v[vgprGlobalReadOffsetB+0], s[sgprSrdB:sgprSrdB+3], 0, offen offset:0 // G -> Reg 0_0_0_0
_buffer_load_b32 v[vgprG2LB+1], v[vgprGlobalReadOffsetB+1], s[sgprSrdB:sgprSrdB+3], 0, offen offset:0 // G -> Reg 0_0_1_0
_buffer_load_b32 v[vgprG2LB+2], v[vgprGlobalReadOffsetB+2], s[sgprSrdB:sgprSrdB+3], 0, offen offset:0 // G -> Reg 0_0_2_0
_buffer_load_b32 v[vgprG2LB+3], v[vgprGlobalReadOffsetB+3], s[sgprSrdB:sgprSrdB+3], 0, offen offset:0 // G -> Reg 0_0_3_0
_buffer_load_b32 v[vgprG2LB+4], v[vgprGlobalReadOffsetB+4], s[sgprSrdB:sgprSrdB+3], 0, offen offset:0 // G -> Reg 0_0_4_0
_buffer_load_b32 v[vgprG2LB+5], v[vgprGlobalReadOffsetB+5], s[sgprSrdB:sgprSrdB+3], 0, offen offset:0 // G -> Reg 0_0_5_0
_buffer_load_b32 v[vgprG2LB+6], v[vgprGlobalReadOffsetB+6], s[sgprSrdB:sgprSrdB+3], 0, offen offset:0 // G -> Reg 0_0_6_0
_buffer_load_b32 v[vgprG2LB+7], v[vgprGlobalReadOffsetB+7], s[sgprSrdB:sgprSrdB+3], 0, offen offset:0 // G -> Reg 0_0_7_0


/* global read inc A loopL */
s_add_u32 s[sgprSrdA+0], s[sgprSrdA+0], s[sgprGlobalReadIncsA+0] // gra SRD += inc(lower)
s_addc_u32  s[sgprSrdA+1], s[sgprSrdA+1], 0        // gra SRD += inc(upper)
s_sub_u32 s[sgprShadowLimitA+0], s[sgprShadowLimitA+0], s[sgprGlobalReadIncsA+0] // limit -= inc)
s_subb_u32 s[sgprShadowLimitA+1], s[sgprShadowLimitA+1], 0 // limit -= inc)
s_cmp_eq_u32 s[sgprShadowLimitA+1], 0              // are we within 2^32?
s_cmov_b32 s[sgprSrdA+2], s[sgprShadowLimitA+0]    // Move shadow to real if we are within 2^32

/* global read inc B loopL */
s_add_u32 s[sgprSrdB+0], s[sgprSrdB+0], s[sgprGlobalReadIncsB+0] // gra SRD += inc(lower)
s_addc_u32  s[sgprSrdB+1], s[sgprSrdB+1], 0        // gra SRD += inc(upper)
s_sub_u32 s[sgprShadowLimitB+0], s[sgprShadowLimitB+0], s[sgprGlobalReadIncsB+0] // limit -= inc)
s_subb_u32 s[sgprShadowLimitB+1], s[sgprShadowLimitB+1], 0 // limit -= inc)
s_cmp_eq_u32 s[sgprShadowLimitB+1], 0              // are we within 2^32?
s_cmov_b32 s[sgprSrdB+2], s[sgprShadowLimitB+0]    // Move shadow to real if we are within 2^32


/******************************************/
/* End setupNewTile, isPap=False             */
/******************************************/

ShadowInitStart_10: // 

s_mov_b32 s[sgprSrdD+2], BufferOOB                 // 
s_mov_b32 s[sgprSrdD+3], Srd127_96                 // Set bits 127_96 in post-loop SRD

s_mov_b32 s[sgprSrdC+2], BufferOOB                 // 
s_mov_b32 s[sgprSrdC+3], Srd127_96                 // Set bits 127_96 in post-loop SRD


s_mul_i32 s62, MT1, s[sgprWorkGroup1]              // <- wg1*MT1
s_mul_hi_u32 s61, s62, s[sgprStrideC1J]            // CScale s62 by Stride
s_mul_i32 s60, s62, s[sgprStrideC1J]               // CScale s62 by Stride
s_lshl_b64 s[60:61], s[60:61], 2                   // scale by bpe
s_add_u32 s[sgprSrdC+0], s[sgprSrdC+0], s60        // add lo to SRD
s_addc_u32 s[sgprSrdC+1], s[sgprSrdC+1], s61       // add hi to SRD
s_mul_hi_u32 s61, s62, s[sgprStrideD1J]            // Scale s62 by Stride
s_mul_i32 s60, s62, s[sgprStrideD1J]               // Scale s62 by Stride
s_lshl_b64 s[60:61], s[60:61], 2                   // scale by bpe
s_add_u32 s[sgprSrdD+0], s[sgprSrdD+0], s60        // add lo to SRD
s_addc_u32 s[sgprSrdD+1], s[sgprSrdD+1], s61       // add hi to SRD

s_mul_hi_u32 s61, s[sgprWorkGroup2], s[sgprStrideCK] // CScale s[sgprWorkGroup2] by Stride
s_mul_i32 s60, s[sgprWorkGroup2], s[sgprStrideCK]  // CScale s[sgprWorkGroup2] by Stride
s_lshl_b64 s[60:61], s[60:61], 2                   // scale by bpe
s_add_u32 s[sgprSrdC+0], s[sgprSrdC+0], s60        // add lo to SRD
s_addc_u32 s[sgprSrdC+1], s[sgprSrdC+1], s61       // add hi to SRD
s_mul_hi_u32 s61, s[sgprWorkGroup2], s[sgprStrideDK] // Scale s[sgprWorkGroup2] by Stride
s_mul_i32 s60, s[sgprWorkGroup2], s[sgprStrideDK]  // Scale s[sgprWorkGroup2] by Stride
s_lshl_b64 s[60:61], s[60:61], 2                   // scale by bpe
s_add_u32 s[sgprSrdD+0], s[sgprSrdD+0], s60        // add lo to SRD
s_addc_u32 s[sgprSrdD+1], s[sgprSrdD+1], s61       // add hi to SRD

// GSU Output Buffer offset: Free0 + (Free1-1)*StrideC1J + (Free2-1)*StrideCK * GSUIdx * bpe
s_mul_hi_u32 s11, s[sgprSizesFree+0], s[sgprGSUSumIdx] // Free0
s_mul_i32 s10, s[sgprSizesFree+0], s[sgprGSUSumIdx] // Free0
s_sub_u32 s37, s[sgprSizesFree+1], 1               // Free1
s_mul_i32 s37, s37, s[sgprGSUSumIdx]               // Free1
s_mul_hi_u32 s39, s37, s[sgprStrideC1J]            // Free1
s_mul_i32 s38, s37, s[sgprStrideC1J]               // Free1
s_add_u32 s10, s10, s38                            // Free1
s_addc_u32 s11, s11, s39                           // Free1
s_sub_u32 s37, s[sgprSizesFree+2], 1               // Free2
s_mul_i32 s37, s37, s[sgprGSUSumIdx]               // Free2
s_mul_hi_u32 s39, s37, s[sgprStrideCK]             // Free2
s_mul_i32 s38, s37, s[sgprStrideCK]                // Free2
s_add_u32 s10, s10, s38                            // Free2
s_addc_u32 s11, s11, s39                           // Free2
s_lshl_b64 s[10:11], s[10:11], 2                   // scale by bpe
s_add_u32 s[sgprSrdD+0], s[sgprSrdD+0], s10        // add lo GSU offset to SRD
s_addc_u32 s[sgprSrdD+1], s[sgprSrdD+1], s11       // add hi GSU offset to SRD


/* initC: remove C-tile 0-0 from pool */

/* initC: remove AB-tile 0-40 from pool */
v_accvgpr_write acc0, 0x0                          // initC
v_accvgpr_write acc1, 0x0                          // initC
v_accvgpr_write acc2, 0x0                          // initC
v_accvgpr_write acc3, 0x0                          // initC
v_accvgpr_write acc4, 0x0                          // initC
v_accvgpr_write acc5, 0x0                          // initC
v_accvgpr_write acc6, 0x0                          // initC
v_accvgpr_write acc7, 0x0                          // initC
v_accvgpr_write acc8, 0x0                          // initC
v_accvgpr_write acc9, 0x0                          // initC
v_accvgpr_write acc10, 0x0                         // initC
v_accvgpr_write acc11, 0x0                         // initC
v_accvgpr_write acc12, 0x0                         // initC
v_accvgpr_write acc13, 0x0                         // initC
v_accvgpr_write acc14, 0x0                         // initC
v_accvgpr_write acc15, 0x0                         // initC

s_cmp_eq_u32 s[sgprLoopCounterL], 0                // at last iteration?

/* after InitC, skip to end of prefetch last iter if numIter==0 */
s_cbranch_scc0 label_NoBranch_11                   // Only branch on scc1
s_getpc_B64 s[60:61]                               // addr of next instr
s_add_i32 s62, PrefetchGlobalLastIterEnd_5, 0x4    // target branch offset
s_add_u32 s60, s60, s62                            // add target branch offset
s_addc_u32 s61, s61, 0                             // add high and carry
s_setpc_b64 s[60:61]                               // branch to PrefetchGlobalLastIterEnd_5
label_NoBranch_11:

s_waitcnt vmcnt(0)                                 // lgkmcnt=-1 vmcnt=0 8wait for global read


/* local write a */
_ds_store_b32 v[vgprLocalWriteAddrA], v[vgprG2LA+0] offset:0 // lwoA_0_0_0_0 = (0*LSCA) + (0*LSPA)(*MT0I+PAD) = 0
_ds_store_b32 v[vgprLocalWriteAddrA], v[vgprG2LA+1] offset:256 // lwoA_0_0_1_0 = (0*LSCA) + (1*LSPA)(*MT0I+PAD) = 256
_ds_store_b32 v[vgprLocalWriteAddrA], v[vgprG2LA+2] offset:576 // lwoA_0_0_2_0 = (0*LSCA) + (2*LSPA)(*MT0I+PAD) = 576
_ds_store_b32 v[vgprLocalWriteAddrA], v[vgprG2LA+3] offset:832 // lwoA_0_0_3_0 = (0*LSCA) + (3*LSPA)(*MT0I+PAD) = 832
_ds_store_b32 v[vgprLocalWriteAddrA], v[vgprG2LA+4] offset:1152 // lwoA_0_0_4_0 = (0*LSCA) + (4*LSPA)(*MT0I+PAD) = 1152
_ds_store_b32 v[vgprLocalWriteAddrA], v[vgprG2LA+5] offset:1408 // lwoA_0_0_5_0 = (0*LSCA) + (5*LSPA)(*MT0I+PAD) = 1408
_ds_store_b32 v[vgprLocalWriteAddrA], v[vgprG2LA+6] offset:1728 // lwoA_0_0_6_0 = (0*LSCA) + (6*LSPA)(*MT0I+PAD) = 1728
_ds_store_b32 v[vgprLocalWriteAddrA], v[vgprG2LA+7] offset:1984 // lwoA_0_0_7_0 = (0*LSCA) + (7*LSPA)(*MT0I+PAD) = 1984

/* local write b */
_ds_store_b32 v[vgprLocalWriteAddrB], v[vgprG2LB+0] offset:0 // lwoB_0_0_0_0 = (0*LSCB) + (0*LSPB)(*MT1J+PAD) = 0
_ds_store_b32 v[vgprLocalWriteAddrB], v[vgprG2LB+1] offset:1152 // lwoB_0_0_1_0 = (0*LSCB) + (1*LSPB)(*MT1J+PAD) = 1152
_ds_store_b32 v[vgprLocalWriteAddrB], v[vgprG2LB+2] offset:2304 // lwoB_0_0_2_0 = (0*LSCB) + (2*LSPB)(*MT1J+PAD) = 2304
_ds_store_b32 v[vgprLocalWriteAddrB], v[vgprG2LB+3] offset:3456 // lwoB_0_0_3_0 = (0*LSCB) + (3*LSPB)(*MT1J+PAD) = 3456
_ds_store_b32 v[vgprLocalWriteAddrB], v[vgprG2LB+4] offset:4608 // lwoB_0_0_4_0 = (0*LSCB) + (4*LSPB)(*MT1J+PAD) = 4608
_ds_store_b32 v[vgprLocalWriteAddrB], v[vgprG2LB+5] offset:5760 // lwoB_0_0_5_0 = (0*LSCB) + (5*LSPB)(*MT1J+PAD) = 5760
_ds_store_b32 v[vgprLocalWriteAddrB], v[vgprG2LB+6] offset:6912 // lwoB_0_0_6_0 = (0*LSCB) + (6*LSPB)(*MT1J+PAD) = 6912
_ds_store_b32 v[vgprLocalWriteAddrB], v[vgprG2LB+7] offset:8064 // lwoB_0_0_7_0 = (0*LSCB) + (7*LSPB)(*MT1J+PAD) = 8064


/* local write swap a */


/* (EPS=1) local write swap internal offset -> 32768 */


/* local write swap b */


/* (EPS=1) local write swap internal offset -> 32768 */


	;; [unrolled: 1-line block ×3, first 2 shown]
s_cmp_eq_u32 s[sgprLoopCounterL] 0x1               // PGR=2 but only 1 loop
s_cbranch_scc1 label_0012                          // PGR=2 but only 1 loop


_buffer_load_b32 v[vgprG2LA+0], v[vgprGlobalReadOffsetA+0], s[sgprSrdA:sgprSrdA+3], 0, offen offset:0 // G -> Reg 0_0_0_0
_buffer_load_b32 v[vgprG2LA+1], v[vgprGlobalReadOffsetA+1], s[sgprSrdA:sgprSrdA+3], 0, offen offset:0 // G -> Reg 0_0_1_0
_buffer_load_b32 v[vgprG2LA+2], v[vgprGlobalReadOffsetA+2], s[sgprSrdA:sgprSrdA+3], 0, offen offset:0 // G -> Reg 0_0_2_0
_buffer_load_b32 v[vgprG2LA+3], v[vgprGlobalReadOffsetA+3], s[sgprSrdA:sgprSrdA+3], 0, offen offset:0 // G -> Reg 0_0_3_0
_buffer_load_b32 v[vgprG2LA+4], v[vgprGlobalReadOffsetA+4], s[sgprSrdA:sgprSrdA+3], 0, offen offset:0 // G -> Reg 0_0_4_0
_buffer_load_b32 v[vgprG2LA+5], v[vgprGlobalReadOffsetA+5], s[sgprSrdA:sgprSrdA+3], 0, offen offset:0 // G -> Reg 0_0_5_0
_buffer_load_b32 v[vgprG2LA+6], v[vgprGlobalReadOffsetA+6], s[sgprSrdA:sgprSrdA+3], 0, offen offset:0 // G -> Reg 0_0_6_0
_buffer_load_b32 v[vgprG2LA+7], v[vgprGlobalReadOffsetA+7], s[sgprSrdA:sgprSrdA+3], 0, offen offset:0 // G -> Reg 0_0_7_0


_buffer_load_b32 v[vgprG2LB+0], v[vgprGlobalReadOffsetB+0], s[sgprSrdB:sgprSrdB+3], 0, offen offset:0 // G -> Reg 0_0_0_0
_buffer_load_b32 v[vgprG2LB+1], v[vgprGlobalReadOffsetB+1], s[sgprSrdB:sgprSrdB+3], 0, offen offset:0 // G -> Reg 0_0_1_0
_buffer_load_b32 v[vgprG2LB+2], v[vgprGlobalReadOffsetB+2], s[sgprSrdB:sgprSrdB+3], 0, offen offset:0 // G -> Reg 0_0_2_0
_buffer_load_b32 v[vgprG2LB+3], v[vgprGlobalReadOffsetB+3], s[sgprSrdB:sgprSrdB+3], 0, offen offset:0 // G -> Reg 0_0_3_0
_buffer_load_b32 v[vgprG2LB+4], v[vgprGlobalReadOffsetB+4], s[sgprSrdB:sgprSrdB+3], 0, offen offset:0 // G -> Reg 0_0_4_0
_buffer_load_b32 v[vgprG2LB+5], v[vgprGlobalReadOffsetB+5], s[sgprSrdB:sgprSrdB+3], 0, offen offset:0 // G -> Reg 0_0_5_0
_buffer_load_b32 v[vgprG2LB+6], v[vgprGlobalReadOffsetB+6], s[sgprSrdB:sgprSrdB+3], 0, offen offset:0 // G -> Reg 0_0_6_0
_buffer_load_b32 v[vgprG2LB+7], v[vgprGlobalReadOffsetB+7], s[sgprSrdB:sgprSrdB+3], 0, offen offset:0 // G -> Reg 0_0_7_0

label_0012:                                        // 

s_waitcnt lgkmcnt(0)                               // lgkmcnt=0 vmcnt=-10prefetch wait for local write

// Skip force waitcnt0
s_barrier //


/* local read prefetch a */

_ds_load_b32 v[vgprValuA_X0_I0_D0+0], v[vgprLocalReadAddrA] offset:0 // L -> Reg lro=0 swapByteOffset=0 ti=64 vIdx=0 rIdx=0 oIdx=0 buffer=0 iui=0
_ds_load_b32 v[vgprValuA_X0_I0_D1+0], v[vgprLocalReadAddrA] offset:128 // L -> Reg lro=0 swapByteOffset=0 ti=64 vIdx=0 rIdx=1 oIdx=0 buffer=0 iui=0
_ds_load_b32 v[vgprValuA_X0_I0_D2+0], v[vgprLocalReadAddrA] offset:256 // L -> Reg lro=0 swapByteOffset=0 ti=64 vIdx=0 rIdx=2 oIdx=0 buffer=0 iui=0
_ds_load_b32 v[vgprValuA_X0_I0_D3+0], v[vgprLocalReadAddrA] offset:384 // L -> Reg lro=0 swapByteOffset=0 ti=64 vIdx=0 rIdx=3 oIdx=0 buffer=0 iui=0


/* local read prefetch b */

_ds_load_b32 v[vgprValuB_X0_I0_D0+0], v[vgprLocalReadAddrB] offset:0 // L -> Reg lro=0 swapByteOffset=0 ti=64 vIdx=0 rIdx=0 oIdx=0 buffer=0 iui=0
_ds_load_b32 v[vgprValuB_X0_I0_D1+0], v[vgprLocalReadAddrB] offset:128 // L -> Reg lro=0 swapByteOffset=0 ti=64 vIdx=0 rIdx=1 oIdx=0 buffer=0 iui=0
_ds_load_b32 v[vgprValuB_X0_I0_D2+0], v[vgprLocalReadAddrB] offset:256 // L -> Reg lro=0 swapByteOffset=0 ti=64 vIdx=0 rIdx=2 oIdx=0 buffer=0 iui=0
_ds_load_b32 v[vgprValuB_X0_I0_D3+0], v[vgprLocalReadAddrB] offset:384 // L -> Reg lro=0 swapByteOffset=0 ti=64 vIdx=0 rIdx=3 oIdx=0 buffer=0 iui=0


/* local read inc a */

/* N/A, lro->1024 */
/* self.localReadDoCntA 1 self.localReadDoCntB 1 */


/* local read inc b */

/* N/A, lro->1024 */
/* self.localReadDoCntA 1 self.localReadDoCntB 1 */


	;; [unrolled: 1-line block ×3, first 2 shown]
/******************************************/
/* Unrolled Loop(s) - Begin               */
/******************************************/

openLoopL_13:
s_cmp_eq_u32 s[sgprLoopCounterL], 0x1              // LoopCounterL < EndCounter
s_cbranch_scc1 label_0014                          // PGR=2 but only 1 loop, toPGR1
s_cmp_le_u32 s[sgprLoopCounterL], 0x2              // LoopCounterL < EndCounter
s_cbranch_scc1 LoopEndL_evenexit_4                 // do not enter LoopL
LoopBeginL_1:


/******************************************/
/* Unrolled Loop 1/2 - Begin              */
/******************************************/

label_0015: // LoopCopy1 


/* Begin Each Unroll: Check VGPR.checkin for INT8 LW */


	;; [unrolled: 1-line block ×3, first 2 shown]
/* iter 0 */

/*  grEndMfmaIndex:6, lwStartMfmaIndex:6, lwEndMfmaIndex:6  */
/*  numMfmaForLR:3, barrierMfmaIndex:12, LocalWritePerMfma:16.000 */
/*  mfmaIndex:0  */
s_waitcnt lgkmcnt(0)                               // lgkmcnt=0 vmcnt=-1wait for prior local read local write old=0, new=0 newLW=0 newLR=0
/* pack scheduling: packAIdx:2, packBIdx:2 */
v_perm_b32 v[vgprValuA_X0_I0+0], v[vgprValuA_X0_I0_D1+0], v[vgprValuA_X0_I0_D0+0], s[sgprPackKForV0] // select K=01 for vector=0
v_perm_b32 v[vgprValuA_X0_I0+1], v[vgprValuA_X0_I0_D3+0], v[vgprValuA_X0_I0_D2+0], s[sgprPackKForV0] // select K=23 for vector=0
v_perm_b32 v[vgprValuB_X0_I0+0], v[vgprValuB_X0_I0_D1+0], v[vgprValuB_X0_I0_D0+0], s[sgprPackKForV0] // select K=01 for vector=0
v_perm_b32 v[vgprValuB_X0_I0+1], v[vgprValuB_X0_I0_D3+0], v[vgprValuB_X0_I0_D2+0], s[sgprPackKForV0] // select K=23 for vector=0
v_perm_b32 v[vgprValuA_X0_I0+2], v[vgprValuA_X0_I0_D1+0], v[vgprValuA_X0_I0_D0+0], s[sgprPackKForV1] // select K=01 for vector=1
v_perm_b32 v[vgprValuA_X0_I0+3], v[vgprValuA_X0_I0_D3+0], v[vgprValuA_X0_I0_D2+0], s[sgprPackKForV1] // select K=23 for vector=1
v_mfma_f32_16x16x16_bf16 a[0+0:3+0], v[vgprValuB_X0_I0+0+0+0:vgprValuB_X0_I0+0+0+0+1], v[vgprValuA_X0_I0+0+0+0:vgprValuA_X0_I0+0+0+0+1], a[0:3]
/*  mfmaIndex:1  */
_ds_load_b32 v[vgprValuA_X1_I0_D0+0], v[vgprLocalReadAddrA] offset:2304 // L -> Reg lro=1024 swapByteOffset=0 ti=64 vIdx=0 rIdx=0 oIdx=0 buffer=1 iui=0
_ds_load_b32 v[vgprValuA_X1_I0_D1+0], v[vgprLocalReadAddrA] offset:2432 // L -> Reg lro=1024 swapByteOffset=0 ti=64 vIdx=0 rIdx=1 oIdx=0 buffer=1 iui=0
_ds_load_b32 v[vgprValuA_X1_I0_D2+0], v[vgprLocalReadAddrA] offset:2560 // L -> Reg lro=1024 swapByteOffset=0 ti=64 vIdx=0 rIdx=2 oIdx=0 buffer=1 iui=0

/* global read inc A loopL */
s_add_u32 s[sgprSrdA+0], s[sgprSrdA+0], s[sgprGlobalReadIncsA+0] // gra SRD += inc(lower)
/* pack scheduling: packAIdx:4, packBIdx:2 */
v_perm_b32 v[vgprValuB_X0_I0+2], v[vgprValuB_X0_I0_D1+0], v[vgprValuB_X0_I0_D0+0], s[sgprPackKForV1] // select K=01 for vector=1
v_perm_b32 v[vgprValuB_X0_I0+3], v[vgprValuB_X0_I0_D3+0], v[vgprValuB_X0_I0_D2+0], s[sgprPackKForV1] // select K=23 for vector=1
v_mfma_f32_16x16x16_bf16 a[4+0:7+0], v[vgprValuB_X0_I0+0+0+0:vgprValuB_X0_I0+0+0+0+1], v[vgprValuA_X0_I0+2+0+0:vgprValuA_X0_I0+2+0+0+1], a[4:7]
/*  mfmaIndex:2  */
_ds_load_b32 v[vgprValuA_X1_I0_D3+0], v[vgprLocalReadAddrA] offset:2688 // L -> Reg lro=1024 swapByteOffset=0 ti=64 vIdx=0 rIdx=3 oIdx=0 buffer=1 iui=0
_ds_load_b32 v[vgprValuB_X1_I0_D0+0], v[vgprLocalReadAddrB] offset:2304 // L -> Reg lro=1024 swapByteOffset=0 ti=64 vIdx=0 rIdx=0 oIdx=0 buffer=1 iui=0
_ds_load_b32 v[vgprValuB_X1_I0_D1+0], v[vgprLocalReadAddrB] offset:2432 // L -> Reg lro=1024 swapByteOffset=0 ti=64 vIdx=0 rIdx=1 oIdx=0 buffer=1 iui=0
s_addc_u32  s[sgprSrdA+1], s[sgprSrdA+1], 0        // gra SRD += inc(upper)
v_mfma_f32_16x16x16_bf16 a[12+0:15+0], v[vgprValuB_X0_I0+2+0+0:vgprValuB_X0_I0+2+0+0+1], v[vgprValuA_X0_I0+2+0+0:vgprValuA_X0_I0+2+0+0+1], a[12:15]
/*  mfmaIndex:3  */
_ds_load_b32 v[vgprValuB_X1_I0_D2+0], v[vgprLocalReadAddrB] offset:2560 // L -> Reg lro=1024 swapByteOffset=0 ti=64 vIdx=0 rIdx=2 oIdx=0 buffer=1 iui=0
_ds_load_b32 v[vgprValuB_X1_I0_D3+0], v[vgprLocalReadAddrB] offset:2688 // L -> Reg lro=1024 swapByteOffset=0 ti=64 vIdx=0 rIdx=3 oIdx=0 buffer=1 iui=0
s_sub_u32 s[sgprShadowLimitA+0], s[sgprShadowLimitA+0], s[sgprGlobalReadIncsA+0] // limit -= inc)
s_subb_u32 s[sgprShadowLimitA+1], s[sgprShadowLimitA+1], 0 // limit -= inc)
s_cmp_eq_u32 s[sgprShadowLimitA+1], 0              // are we within 2^32?
s_cmov_b32 s[sgprSrdA+2], s[sgprShadowLimitA+0]    // Move shadow to real if we are within 2^32

/* global read inc B loopL */
s_add_u32 s[sgprSrdB+0], s[sgprSrdB+0], s[sgprGlobalReadIncsB+0] // gra SRD += inc(lower)
s_addc_u32  s[sgprSrdB+1], s[sgprSrdB+1], 0        // gra SRD += inc(upper)
s_sub_u32 s[sgprShadowLimitB+0], s[sgprShadowLimitB+0], s[sgprGlobalReadIncsB+0] // limit -= inc)
v_mfma_f32_16x16x16_bf16 a[8+0:11+0], v[vgprValuB_X0_I0+2+0+0:vgprValuB_X0_I0+2+0+0+1], v[vgprValuA_X0_I0+0+0+0:vgprValuA_X0_I0+0+0+0+1], a[8:11]
/* numPrefetchIter=0 */
/* dataAtIterA=-1 numReadsIterA=1 skipReadsIterA=1 readsPerIterA=4 */
/* dataAtIterB=-1 numReadsIterB=1 skipReadsIterB=1 readsPerIterB=4 */


/* iter 1 (swap and reset local write pointers iteration)  */

/*  grEndMfmaIndex:6, lwStartMfmaIndex:6, lwEndMfmaIndex:6  */
/*  numMfmaForLR:3, barrierMfmaIndex:12, LocalWritePerMfma:16.000 */
/*  mfmaIndex:4  */
_ds_load_b32 v[vgprValuA_X2_I0_D0+0], v[vgprLocalReadAddrA] offset:4608 // L -> Reg lro=2048 swapByteOffset=0 ti=64 vIdx=0 rIdx=0 oIdx=0 buffer=2 iui=0
_ds_load_b32 v[vgprValuA_X2_I0_D1+0], v[vgprLocalReadAddrA] offset:4736 // L -> Reg lro=2048 swapByteOffset=0 ti=64 vIdx=0 rIdx=1 oIdx=0 buffer=2 iui=0
s_subb_u32 s[sgprShadowLimitB+1], s[sgprShadowLimitB+1], 0 // limit -= inc)
s_waitcnt lgkmcnt(2)                               // lgkmcnt=0 vmcnt=-1wait for prior local read local write old=0, new=2 newLW=0 newLR=2
/* pack scheduling: packAIdx:2, packBIdx:2 */
v_perm_b32 v[vgprValuA_X1_I0+0], v[vgprValuA_X1_I0_D1+0], v[vgprValuA_X1_I0_D0+0], s[sgprPackKForV0] // select K=01 for vector=0
v_perm_b32 v[vgprValuA_X1_I0+1], v[vgprValuA_X1_I0_D3+0], v[vgprValuA_X1_I0_D2+0], s[sgprPackKForV0] // select K=23 for vector=0
v_perm_b32 v[vgprValuB_X1_I0+0], v[vgprValuB_X1_I0_D1+0], v[vgprValuB_X1_I0_D0+0], s[sgprPackKForV0] // select K=01 for vector=0
v_perm_b32 v[vgprValuB_X1_I0+1], v[vgprValuB_X1_I0_D3+0], v[vgprValuB_X1_I0_D2+0], s[sgprPackKForV0] // select K=23 for vector=0
v_perm_b32 v[vgprValuA_X1_I0+2], v[vgprValuA_X1_I0_D1+0], v[vgprValuA_X1_I0_D0+0], s[sgprPackKForV1] // select K=01 for vector=1
v_perm_b32 v[vgprValuA_X1_I0+3], v[vgprValuA_X1_I0_D3+0], v[vgprValuA_X1_I0_D2+0], s[sgprPackKForV1] // select K=23 for vector=1
v_mfma_f32_16x16x16_bf16 a[0+0:3+0], v[vgprValuB_X1_I0+0+0+0:vgprValuB_X1_I0+0+0+0+1], v[vgprValuA_X1_I0+0+0+0:vgprValuA_X1_I0+0+0+0+1], a[0:3]
/*  mfmaIndex:5  */
_ds_load_b32 v[vgprValuA_X2_I0_D2+0], v[vgprLocalReadAddrA] offset:4864 // L -> Reg lro=2048 swapByteOffset=0 ti=64 vIdx=0 rIdx=2 oIdx=0 buffer=2 iui=0
_ds_load_b32 v[vgprValuA_X2_I0_D3+0], v[vgprLocalReadAddrA] offset:4992 // L -> Reg lro=2048 swapByteOffset=0 ti=64 vIdx=0 rIdx=3 oIdx=0 buffer=2 iui=0
s_cmp_eq_u32 s[sgprShadowLimitB+1], 0              // are we within 2^32?
/* pack scheduling: packAIdx:4, packBIdx:2 */
v_perm_b32 v[vgprValuB_X1_I0+2], v[vgprValuB_X1_I0_D1+0], v[vgprValuB_X1_I0_D0+0], s[sgprPackKForV1] // select K=01 for vector=1
v_perm_b32 v[vgprValuB_X1_I0+3], v[vgprValuB_X1_I0_D3+0], v[vgprValuB_X1_I0_D2+0], s[sgprPackKForV1] // select K=23 for vector=1
v_mfma_f32_16x16x16_bf16 a[4+0:7+0], v[vgprValuB_X1_I0+0+0+0:vgprValuB_X1_I0+0+0+0+1], v[vgprValuA_X1_I0+2+0+0:vgprValuA_X1_I0+2+0+0+1], a[4:7]
/*  mfmaIndex:6  */
_ds_load_b32 v[vgprValuB_X2_I0_D0+0], v[vgprLocalReadAddrB] offset:4608 // L -> Reg lro=2048 swapByteOffset=0 ti=64 vIdx=0 rIdx=0 oIdx=0 buffer=2 iui=0
_ds_load_b32 v[vgprValuB_X2_I0_D1+0], v[vgprLocalReadAddrB] offset:4736 // L -> Reg lro=2048 swapByteOffset=0 ti=64 vIdx=0 rIdx=1 oIdx=0 buffer=2 iui=0
s_cmov_b32 s[sgprSrdB+2], s[sgprShadowLimitB+0]    // Move shadow to real if we are within 2^32
/* sched write - iter 1 writesPerItem=1 */
s_waitcnt vmcnt(0)                                 // lgkmcnt=-1 vmcnt=0wait for global read before writing to local
_ds_store_b32 v[vgprLocalWriteAddrA], v[vgprG2LA+0] offset:32768 // lwoA_0_0_0_0 = (0*LSCA) + (0*LSPA)(*MT0I+PAD) = 32768
_buffer_load_b32 v[vgprG2LA+0], v[vgprGlobalReadOffsetA+0], s[sgprSrdA:sgprSrdA+3], 0, offen offset:0 // G -> Reg 0_0_0_0
/* sched write - iter 1 writesPerItem=1 */
s_waitcnt vmcnt(0)                                 // lgkmcnt=-1 vmcnt=0wait for global read before writing to local
_ds_store_b32 v[vgprLocalWriteAddrA], v[vgprG2LA+1] offset:33024 // lwoA_0_0_1_0 = (0*LSCA) + (1*LSPA)(*MT0I+PAD) = 33024
_buffer_load_b32 v[vgprG2LA+1], v[vgprGlobalReadOffsetA+1], s[sgprSrdA:sgprSrdA+3], 0, offen offset:0 // G -> Reg 0_0_1_0
/* sched write - iter 1 writesPerItem=1 */
s_waitcnt vmcnt(0)                                 // lgkmcnt=-1 vmcnt=0wait for global read before writing to local
_ds_store_b32 v[vgprLocalWriteAddrA], v[vgprG2LA+2] offset:33344 // lwoA_0_0_2_0 = (0*LSCA) + (2*LSPA)(*MT0I+PAD) = 33344
_buffer_load_b32 v[vgprG2LA+2], v[vgprGlobalReadOffsetA+2], s[sgprSrdA:sgprSrdA+3], 0, offen offset:0 // G -> Reg 0_0_2_0
/* sched write - iter 1 writesPerItem=1 */
s_waitcnt vmcnt(0)                                 // lgkmcnt=-1 vmcnt=0wait for global read before writing to local
_ds_store_b32 v[vgprLocalWriteAddrA], v[vgprG2LA+3] offset:33600 // lwoA_0_0_3_0 = (0*LSCA) + (3*LSPA)(*MT0I+PAD) = 33600
_buffer_load_b32 v[vgprG2LA+3], v[vgprGlobalReadOffsetA+3], s[sgprSrdA:sgprSrdA+3], 0, offen offset:0 // G -> Reg 0_0_3_0
/* sched write - iter 1 writesPerItem=1 */
s_waitcnt vmcnt(0)                                 // lgkmcnt=-1 vmcnt=0wait for global read before writing to local
_ds_store_b32 v[vgprLocalWriteAddrA], v[vgprG2LA+4] offset:33920 // lwoA_0_0_4_0 = (0*LSCA) + (4*LSPA)(*MT0I+PAD) = 33920
_buffer_load_b32 v[vgprG2LA+4], v[vgprGlobalReadOffsetA+4], s[sgprSrdA:sgprSrdA+3], 0, offen offset:0 // G -> Reg 0_0_4_0
/* sched write - iter 1 writesPerItem=1 */
s_waitcnt vmcnt(0)                                 // lgkmcnt=-1 vmcnt=0wait for global read before writing to local
_ds_store_b32 v[vgprLocalWriteAddrA], v[vgprG2LA+5] offset:34176 // lwoA_0_0_5_0 = (0*LSCA) + (5*LSPA)(*MT0I+PAD) = 34176
_buffer_load_b32 v[vgprG2LA+5], v[vgprGlobalReadOffsetA+5], s[sgprSrdA:sgprSrdA+3], 0, offen offset:0 // G -> Reg 0_0_5_0
/* sched write - iter 1 writesPerItem=1 */
s_waitcnt vmcnt(0)                                 // lgkmcnt=-1 vmcnt=0wait for global read before writing to local
_ds_store_b32 v[vgprLocalWriteAddrA], v[vgprG2LA+6] offset:34496 // lwoA_0_0_6_0 = (0*LSCA) + (6*LSPA)(*MT0I+PAD) = 34496
_buffer_load_b32 v[vgprG2LA+6], v[vgprGlobalReadOffsetA+6], s[sgprSrdA:sgprSrdA+3], 0, offen offset:0 // G -> Reg 0_0_6_0
/* sched write - iter 1 writesPerItem=1 */
s_waitcnt vmcnt(0)                                 // lgkmcnt=-1 vmcnt=0wait for global read before writing to local
_ds_store_b32 v[vgprLocalWriteAddrA], v[vgprG2LA+7] offset:34752 // lwoA_0_0_7_0 = (0*LSCA) + (7*LSPA)(*MT0I+PAD) = 34752
_buffer_load_b32 v[vgprG2LA+7], v[vgprGlobalReadOffsetA+7], s[sgprSrdA:sgprSrdA+3], 0, offen offset:0 // G -> Reg 0_0_7_0
/* sched write - iter 1 writesPerItem=1 */
s_waitcnt vmcnt(0)                                 // lgkmcnt=-1 vmcnt=0wait for global read before writing to local
_ds_store_b32 v[vgprLocalWriteAddrB], v[vgprG2LB+0] offset:32768 // lwoB_0_0_0_0 = (0*LSCB) + (0*LSPB)(*MT1J+PAD) = 32768
_buffer_load_b32 v[vgprG2LB+0], v[vgprGlobalReadOffsetB+0], s[sgprSrdB:sgprSrdB+3], 0, offen offset:0 // G -> Reg 0_0_0_0
/* sched write - iter 1 writesPerItem=1 */
s_waitcnt vmcnt(0)                                 // lgkmcnt=-1 vmcnt=0wait for global read before writing to local
_ds_store_b32 v[vgprLocalWriteAddrB], v[vgprG2LB+1] offset:33920 // lwoB_0_0_1_0 = (0*LSCB) + (1*LSPB)(*MT1J+PAD) = 33920
_buffer_load_b32 v[vgprG2LB+1], v[vgprGlobalReadOffsetB+1], s[sgprSrdB:sgprSrdB+3], 0, offen offset:0 // G -> Reg 0_0_1_0
/* sched write - iter 1 writesPerItem=1 */
s_waitcnt vmcnt(0)                                 // lgkmcnt=-1 vmcnt=0wait for global read before writing to local
_ds_store_b32 v[vgprLocalWriteAddrB], v[vgprG2LB+2] offset:35072 // lwoB_0_0_2_0 = (0*LSCB) + (2*LSPB)(*MT1J+PAD) = 35072
_buffer_load_b32 v[vgprG2LB+2], v[vgprGlobalReadOffsetB+2], s[sgprSrdB:sgprSrdB+3], 0, offen offset:0 // G -> Reg 0_0_2_0
/* sched write - iter 1 writesPerItem=1 */
s_waitcnt vmcnt(0)                                 // lgkmcnt=-1 vmcnt=0wait for global read before writing to local
_ds_store_b32 v[vgprLocalWriteAddrB], v[vgprG2LB+3] offset:36224 // lwoB_0_0_3_0 = (0*LSCB) + (3*LSPB)(*MT1J+PAD) = 36224
_buffer_load_b32 v[vgprG2LB+3], v[vgprGlobalReadOffsetB+3], s[sgprSrdB:sgprSrdB+3], 0, offen offset:0 // G -> Reg 0_0_3_0
/* sched write - iter 1 writesPerItem=1 */
s_waitcnt vmcnt(0)                                 // lgkmcnt=-1 vmcnt=0wait for global read before writing to local
_ds_store_b32 v[vgprLocalWriteAddrB], v[vgprG2LB+4] offset:37376 // lwoB_0_0_4_0 = (0*LSCB) + (4*LSPB)(*MT1J+PAD) = 37376
_buffer_load_b32 v[vgprG2LB+4], v[vgprGlobalReadOffsetB+4], s[sgprSrdB:sgprSrdB+3], 0, offen offset:0 // G -> Reg 0_0_4_0
/* sched write - iter 1 writesPerItem=1 */
s_waitcnt vmcnt(0)                                 // lgkmcnt=-1 vmcnt=0wait for global read before writing to local
_ds_store_b32 v[vgprLocalWriteAddrB], v[vgprG2LB+5] offset:38528 // lwoB_0_0_5_0 = (0*LSCB) + (5*LSPB)(*MT1J+PAD) = 38528
_buffer_load_b32 v[vgprG2LB+5], v[vgprGlobalReadOffsetB+5], s[sgprSrdB:sgprSrdB+3], 0, offen offset:0 // G -> Reg 0_0_5_0
/* sched write - iter 1 writesPerItem=1 */
s_waitcnt vmcnt(0)                                 // lgkmcnt=-1 vmcnt=0wait for global read before writing to local
_ds_store_b32 v[vgprLocalWriteAddrB], v[vgprG2LB+6] offset:39680 // lwoB_0_0_6_0 = (0*LSCB) + (6*LSPB)(*MT1J+PAD) = 39680
_buffer_load_b32 v[vgprG2LB+6], v[vgprGlobalReadOffsetB+6], s[sgprSrdB:sgprSrdB+3], 0, offen offset:0 // G -> Reg 0_0_6_0
/* sched write - iter 1 writesPerItem=1 */
s_waitcnt vmcnt(0)                                 // lgkmcnt=-1 vmcnt=0wait for global read before writing to local
_ds_store_b32 v[vgprLocalWriteAddrB], v[vgprG2LB+7] offset:40832 // lwoB_0_0_7_0 = (0*LSCB) + (7*LSPB)(*MT1J+PAD) = 40832
_buffer_load_b32 v[vgprG2LB+7], v[vgprGlobalReadOffsetB+7], s[sgprSrdB:sgprSrdB+3], 0, offen offset:0 // G -> Reg 0_0_7_0

/* local write swap offsets a */

/* (EPS=1) local write swap internal offset -> 0 */

/* local write swap offsets b */

/* (EPS=1) local write swap internal offset -> 0 */
v_mfma_f32_16x16x16_bf16 a[12+0:15+0], v[vgprValuB_X1_I0+2+0+0:vgprValuB_X1_I0+2+0+0+1], v[vgprValuA_X1_I0+2+0+0:vgprValuA_X1_I0+2+0+0+1], a[12:15]
/*  mfmaIndex:7  */
_ds_load_b32 v[vgprValuB_X2_I0_D2+0], v[vgprLocalReadAddrB] offset:4864 // L -> Reg lro=2048 swapByteOffset=0 ti=64 vIdx=0 rIdx=2 oIdx=0 buffer=2 iui=0
_ds_load_b32 v[vgprValuB_X2_I0_D3+0], v[vgprLocalReadAddrB] offset:4992 // L -> Reg lro=2048 swapByteOffset=0 ti=64 vIdx=0 rIdx=3 oIdx=0 buffer=2 iui=0
v_mfma_f32_16x16x16_bf16 a[8+0:11+0], v[vgprValuB_X1_I0+2+0+0:vgprValuB_X1_I0+2+0+0+1], v[vgprValuA_X1_I0+0+0+0:vgprValuA_X1_I0+0+0+0+1], a[8:11]
/* numPrefetchIter=0 */
/* dataAtIterA=0 numReadsIterA=2 skipReadsIterA=1 readsPerIterA=4 */
/* dataAtIterB=0 numReadsIterB=2 skipReadsIterB=1 readsPerIterB=4 */


/* iter 2 (reset local read pointers iteration)  (swap local read pointers iteration)  */

/*  grEndMfmaIndex:6, lwStartMfmaIndex:6, lwEndMfmaIndex:6  */
/*  numMfmaForLR:3, barrierMfmaIndex:12, LocalWritePerMfma:16.000 */
/*  mfmaIndex:8  */
_ds_load_b32 v[vgprValuA_X3_I0_D0+0], v[vgprLocalReadAddrA] offset:6912 // L -> Reg lro=3072 swapByteOffset=0 ti=64 vIdx=0 rIdx=0 oIdx=0 buffer=3 iui=0
_ds_load_b32 v[vgprValuA_X3_I0_D1+0], v[vgprLocalReadAddrA] offset:7040 // L -> Reg lro=3072 swapByteOffset=0 ti=64 vIdx=0 rIdx=1 oIdx=0 buffer=3 iui=0
s_waitcnt lgkmcnt(2)                               // lgkmcnt=0 vmcnt=-1wait for prior local read local write old=0, new=2 newLW=0 newLR=2
/* pack scheduling: packAIdx:2, packBIdx:2 */
v_perm_b32 v[vgprValuA_X2_I0+0], v[vgprValuA_X2_I0_D1+0], v[vgprValuA_X2_I0_D0+0], s[sgprPackKForV0] // select K=01 for vector=0
v_perm_b32 v[vgprValuA_X2_I0+1], v[vgprValuA_X2_I0_D3+0], v[vgprValuA_X2_I0_D2+0], s[sgprPackKForV0] // select K=23 for vector=0
v_perm_b32 v[vgprValuB_X2_I0+0], v[vgprValuB_X2_I0_D1+0], v[vgprValuB_X2_I0_D0+0], s[sgprPackKForV0] // select K=01 for vector=0
v_perm_b32 v[vgprValuB_X2_I0+1], v[vgprValuB_X2_I0_D3+0], v[vgprValuB_X2_I0_D2+0], s[sgprPackKForV0] // select K=23 for vector=0
v_perm_b32 v[vgprValuA_X2_I0+2], v[vgprValuA_X2_I0_D1+0], v[vgprValuA_X2_I0_D0+0], s[sgprPackKForV1] // select K=01 for vector=1
v_perm_b32 v[vgprValuA_X2_I0+3], v[vgprValuA_X2_I0_D3+0], v[vgprValuA_X2_I0_D2+0], s[sgprPackKForV1] // select K=23 for vector=1
v_mfma_f32_16x16x16_bf16 a[0+0:3+0], v[vgprValuB_X2_I0+0+0+0:vgprValuB_X2_I0+0+0+0+1], v[vgprValuA_X2_I0+0+0+0:vgprValuA_X2_I0+0+0+0+1], a[0:3]
/*  mfmaIndex:9  */
_ds_load_b32 v[vgprValuA_X3_I0_D2+0], v[vgprLocalReadAddrA] offset:7168 // L -> Reg lro=3072 swapByteOffset=0 ti=64 vIdx=0 rIdx=2 oIdx=0 buffer=3 iui=0
_ds_load_b32 v[vgprValuA_X3_I0_D3+0], v[vgprLocalReadAddrA] offset:7296 // L -> Reg lro=3072 swapByteOffset=0 ti=64 vIdx=0 rIdx=3 oIdx=0 buffer=3 iui=0
/* pack scheduling: packAIdx:4, packBIdx:2 */
v_perm_b32 v[vgprValuB_X2_I0+2], v[vgprValuB_X2_I0_D1+0], v[vgprValuB_X2_I0_D0+0], s[sgprPackKForV1] // select K=01 for vector=1
v_perm_b32 v[vgprValuB_X2_I0+3], v[vgprValuB_X2_I0_D3+0], v[vgprValuB_X2_I0_D2+0], s[sgprPackKForV1] // select K=23 for vector=1
v_mfma_f32_16x16x16_bf16 a[4+0:7+0], v[vgprValuB_X2_I0+0+0+0:vgprValuB_X2_I0+0+0+0+1], v[vgprValuA_X2_I0+2+0+0:vgprValuA_X2_I0+2+0+0+1], a[4:7]
/*  mfmaIndex:10  */
_ds_load_b32 v[vgprValuB_X3_I0_D0+0], v[vgprLocalReadAddrB] offset:6912 // L -> Reg lro=3072 swapByteOffset=0 ti=64 vIdx=0 rIdx=0 oIdx=0 buffer=3 iui=0
_ds_load_b32 v[vgprValuB_X3_I0_D1+0], v[vgprLocalReadAddrB] offset:7040 // L -> Reg lro=3072 swapByteOffset=0 ti=64 vIdx=0 rIdx=1 oIdx=0 buffer=3 iui=0
v_mfma_f32_16x16x16_bf16 a[12+0:15+0], v[vgprValuB_X2_I0+2+0+0:vgprValuB_X2_I0+2+0+0+1], v[vgprValuA_X2_I0+2+0+0:vgprValuA_X2_I0+2+0+0+1], a[12:15]
/*  mfmaIndex:11  */
_ds_load_b32 v[vgprValuB_X3_I0_D2+0], v[vgprLocalReadAddrB] offset:7168 // L -> Reg lro=3072 swapByteOffset=0 ti=64 vIdx=0 rIdx=2 oIdx=0 buffer=3 iui=0
_ds_load_b32 v[vgprValuB_X3_I0_D3+0], v[vgprLocalReadAddrB] offset:7296 // L -> Reg lro=3072 swapByteOffset=0 ti=64 vIdx=0 rIdx=3 oIdx=0 buffer=3 iui=0

/* local read swap offsets a */

/* local read swap internal offset -> 32768 */

/* local read swap offsets b */

/* local read swap internal offset -> 32768 */

/* local read init pointers a */

/* localReadInitPointers */

/* local read init pointers b */

/* localReadInitPointers */
v_mfma_f32_16x16x16_bf16 a[8+0:11+0], v[vgprValuB_X2_I0+2+0+0:vgprValuB_X2_I0+2+0+0+1], v[vgprValuA_X2_I0+0+0+0:vgprValuA_X2_I0+0+0+0+1], a[8:11]
/* numPrefetchIter=0 */
/* dataAtIterA=1 numReadsIterA=3 skipReadsIterA=1 readsPerIterA=4 */
/* dataAtIterB=1 numReadsIterB=3 skipReadsIterB=1 readsPerIterB=4 */


/* iter 3 */

/*  grEndMfmaIndex:6, lwStartMfmaIndex:6, lwEndMfmaIndex:6  */
/*  numMfmaForLR:3, barrierMfmaIndex:12, LocalWritePerMfma:16.000 */
/*  mfmaIndex:12  */
s_waitcnt lgkmcnt(0)                               // lgkmcnt=0 vmcnt=-13wait for local write
// Skip force waitcnt0
s_barrier //
s_waitcnt lgkmcnt(0)                               // lgkmcnt=0 vmcnt=-1wait for prior local read local write old=0, new=0 newLW=0 newLR=0
/* pack scheduling: packAIdx:2, packBIdx:2 */
v_perm_b32 v[vgprValuA_X3_I0+0], v[vgprValuA_X3_I0_D1+0], v[vgprValuA_X3_I0_D0+0], s[sgprPackKForV0] // select K=01 for vector=0
v_perm_b32 v[vgprValuA_X3_I0+1], v[vgprValuA_X3_I0_D3+0], v[vgprValuA_X3_I0_D2+0], s[sgprPackKForV0] // select K=23 for vector=0
v_perm_b32 v[vgprValuB_X3_I0+0], v[vgprValuB_X3_I0_D1+0], v[vgprValuB_X3_I0_D0+0], s[sgprPackKForV0] // select K=01 for vector=0
v_perm_b32 v[vgprValuB_X3_I0+1], v[vgprValuB_X3_I0_D3+0], v[vgprValuB_X3_I0_D2+0], s[sgprPackKForV0] // select K=23 for vector=0
v_perm_b32 v[vgprValuA_X3_I0+2], v[vgprValuA_X3_I0_D1+0], v[vgprValuA_X3_I0_D0+0], s[sgprPackKForV1] // select K=01 for vector=1
v_perm_b32 v[vgprValuA_X3_I0+3], v[vgprValuA_X3_I0_D3+0], v[vgprValuA_X3_I0_D2+0], s[sgprPackKForV1] // select K=23 for vector=1
v_mfma_f32_16x16x16_bf16 a[0+0:3+0], v[vgprValuB_X3_I0+0+0+0:vgprValuB_X3_I0+0+0+0+1], v[vgprValuA_X3_I0+0+0+0:vgprValuA_X3_I0+0+0+0+1], a[0:3]
/*  mfmaIndex:13  */
_ds_load_b32 v[vgprValuA_X0_I0_D0+0], v[vgprLocalReadAddrA] offset:32768 // L -> Reg lro=0 swapByteOffset=32768 ti=64 vIdx=0 rIdx=0 oIdx=0 buffer=0 iui=0
_ds_load_b32 v[vgprValuA_X0_I0_D1+0], v[vgprLocalReadAddrA] offset:32896 // L -> Reg lro=0 swapByteOffset=32768 ti=64 vIdx=0 rIdx=1 oIdx=0 buffer=0 iui=0
_ds_load_b32 v[vgprValuA_X0_I0_D2+0], v[vgprLocalReadAddrA] offset:33024 // L -> Reg lro=0 swapByteOffset=32768 ti=64 vIdx=0 rIdx=2 oIdx=0 buffer=0 iui=0
/* pack scheduling: packAIdx:4, packBIdx:2 */
v_perm_b32 v[vgprValuB_X3_I0+2], v[vgprValuB_X3_I0_D1+0], v[vgprValuB_X3_I0_D0+0], s[sgprPackKForV1] // select K=01 for vector=1
v_perm_b32 v[vgprValuB_X3_I0+3], v[vgprValuB_X3_I0_D3+0], v[vgprValuB_X3_I0_D2+0], s[sgprPackKForV1] // select K=23 for vector=1
v_mfma_f32_16x16x16_bf16 a[4+0:7+0], v[vgprValuB_X3_I0+0+0+0:vgprValuB_X3_I0+0+0+0+1], v[vgprValuA_X3_I0+2+0+0:vgprValuA_X3_I0+2+0+0+1], a[4:7]
/*  mfmaIndex:14  */
_ds_load_b32 v[vgprValuA_X0_I0_D3+0], v[vgprLocalReadAddrA] offset:33152 // L -> Reg lro=0 swapByteOffset=32768 ti=64 vIdx=0 rIdx=3 oIdx=0 buffer=0 iui=0
_ds_load_b32 v[vgprValuB_X0_I0_D0+0], v[vgprLocalReadAddrB] offset:32768 // L -> Reg lro=0 swapByteOffset=32768 ti=64 vIdx=0 rIdx=0 oIdx=0 buffer=0 iui=0
_ds_load_b32 v[vgprValuB_X0_I0_D1+0], v[vgprLocalReadAddrB] offset:32896 // L -> Reg lro=0 swapByteOffset=32768 ti=64 vIdx=0 rIdx=1 oIdx=0 buffer=0 iui=0
v_mfma_f32_16x16x16_bf16 a[12+0:15+0], v[vgprValuB_X3_I0+2+0+0:vgprValuB_X3_I0+2+0+0+1], v[vgprValuA_X3_I0+2+0+0:vgprValuA_X3_I0+2+0+0+1], a[12:15]
/*  mfmaIndex:15  */
_ds_load_b32 v[vgprValuB_X0_I0_D2+0], v[vgprLocalReadAddrB] offset:33024 // L -> Reg lro=0 swapByteOffset=32768 ti=64 vIdx=0 rIdx=2 oIdx=0 buffer=0 iui=0
_ds_load_b32 v[vgprValuB_X0_I0_D3+0], v[vgprLocalReadAddrB] offset:33152 // L -> Reg lro=0 swapByteOffset=32768 ti=64 vIdx=0 rIdx=3 oIdx=0 buffer=0 iui=0
v_mfma_f32_16x16x16_bf16 a[8+0:11+0], v[vgprValuB_X3_I0+2+0+0:vgprValuB_X3_I0+2+0+0+1], v[vgprValuA_X3_I0+0+0+0:vgprValuA_X3_I0+0+0+0+1], a[8:11]
/* numPrefetchIter=1 */
/* dataAtIterA=2 numReadsIterA=3 skipReadsIterA=1 readsPerIterA=4 */
/* dataAtIterB=2 numReadsIterB=3 skipReadsIterB=1 readsPerIterB=4 */


/******************************************/
/* Unrolled Loop - End 1/2                */
/******************************************/


/* closeLoop loopL finalLoop=0 tailLoop=0 */
s_sub_u32 s[sgprLoopCounterL], s[sgprLoopCounterL], 1 // dec counterL
s_cmp_eq_i32 s[sgprLoopCounterL], 0x2              // counterL==2
s_cbranch_scc1 LoopEndL_oddexit_3                  // exit LoopL


/******************************************/
/* Unrolled Loop 2/2 - Begin              */
/******************************************/

label_0016: // LoopCopy2 


/* Begin Each Unroll: Check VGPR.checkin for INT8 LW */


	;; [unrolled: 1-line block ×3, first 2 shown]
/* iter 0 */

/*  grEndMfmaIndex:6, lwStartMfmaIndex:6, lwEndMfmaIndex:6  */
/*  numMfmaForLR:3, barrierMfmaIndex:12, LocalWritePerMfma:16.000 */
/*  mfmaIndex:0  */
s_waitcnt lgkmcnt(0)                               // lgkmcnt=0 vmcnt=-1wait for prior local read local write old=0, new=0 newLW=0 newLR=0
/* pack scheduling: packAIdx:2, packBIdx:2 */
v_perm_b32 v[vgprValuA_X0_I0+0], v[vgprValuA_X0_I0_D1+0], v[vgprValuA_X0_I0_D0+0], s[sgprPackKForV0] // select K=01 for vector=0
v_perm_b32 v[vgprValuA_X0_I0+1], v[vgprValuA_X0_I0_D3+0], v[vgprValuA_X0_I0_D2+0], s[sgprPackKForV0] // select K=23 for vector=0
v_perm_b32 v[vgprValuB_X0_I0+0], v[vgprValuB_X0_I0_D1+0], v[vgprValuB_X0_I0_D0+0], s[sgprPackKForV0] // select K=01 for vector=0
v_perm_b32 v[vgprValuB_X0_I0+1], v[vgprValuB_X0_I0_D3+0], v[vgprValuB_X0_I0_D2+0], s[sgprPackKForV0] // select K=23 for vector=0
v_perm_b32 v[vgprValuA_X0_I0+2], v[vgprValuA_X0_I0_D1+0], v[vgprValuA_X0_I0_D0+0], s[sgprPackKForV1] // select K=01 for vector=1
v_perm_b32 v[vgprValuA_X0_I0+3], v[vgprValuA_X0_I0_D3+0], v[vgprValuA_X0_I0_D2+0], s[sgprPackKForV1] // select K=23 for vector=1
v_mfma_f32_16x16x16_bf16 a[0+0:3+0], v[vgprValuB_X0_I0+0+0+0:vgprValuB_X0_I0+0+0+0+1], v[vgprValuA_X0_I0+0+0+0:vgprValuA_X0_I0+0+0+0+1], a[0:3]
/*  mfmaIndex:1  */
_ds_load_b32 v[vgprValuA_X1_I0_D0+0], v[vgprLocalReadAddrA] offset:35072 // L -> Reg lro=1024 swapByteOffset=32768 ti=64 vIdx=0 rIdx=0 oIdx=0 buffer=1 iui=0
_ds_load_b32 v[vgprValuA_X1_I0_D1+0], v[vgprLocalReadAddrA] offset:35200 // L -> Reg lro=1024 swapByteOffset=32768 ti=64 vIdx=0 rIdx=1 oIdx=0 buffer=1 iui=0
_ds_load_b32 v[vgprValuA_X1_I0_D2+0], v[vgprLocalReadAddrA] offset:35328 // L -> Reg lro=1024 swapByteOffset=32768 ti=64 vIdx=0 rIdx=2 oIdx=0 buffer=1 iui=0

/* global read inc A loopL */
s_add_u32 s[sgprSrdA+0], s[sgprSrdA+0], s[sgprGlobalReadIncsA+0] // gra SRD += inc(lower)
/* pack scheduling: packAIdx:4, packBIdx:2 */
v_perm_b32 v[vgprValuB_X0_I0+2], v[vgprValuB_X0_I0_D1+0], v[vgprValuB_X0_I0_D0+0], s[sgprPackKForV1] // select K=01 for vector=1
v_perm_b32 v[vgprValuB_X0_I0+3], v[vgprValuB_X0_I0_D3+0], v[vgprValuB_X0_I0_D2+0], s[sgprPackKForV1] // select K=23 for vector=1
v_mfma_f32_16x16x16_bf16 a[4+0:7+0], v[vgprValuB_X0_I0+0+0+0:vgprValuB_X0_I0+0+0+0+1], v[vgprValuA_X0_I0+2+0+0:vgprValuA_X0_I0+2+0+0+1], a[4:7]
/*  mfmaIndex:2  */
_ds_load_b32 v[vgprValuA_X1_I0_D3+0], v[vgprLocalReadAddrA] offset:35456 // L -> Reg lro=1024 swapByteOffset=32768 ti=64 vIdx=0 rIdx=3 oIdx=0 buffer=1 iui=0
_ds_load_b32 v[vgprValuB_X1_I0_D0+0], v[vgprLocalReadAddrB] offset:35072 // L -> Reg lro=1024 swapByteOffset=32768 ti=64 vIdx=0 rIdx=0 oIdx=0 buffer=1 iui=0
_ds_load_b32 v[vgprValuB_X1_I0_D1+0], v[vgprLocalReadAddrB] offset:35200 // L -> Reg lro=1024 swapByteOffset=32768 ti=64 vIdx=0 rIdx=1 oIdx=0 buffer=1 iui=0
s_addc_u32  s[sgprSrdA+1], s[sgprSrdA+1], 0        // gra SRD += inc(upper)
v_mfma_f32_16x16x16_bf16 a[12+0:15+0], v[vgprValuB_X0_I0+2+0+0:vgprValuB_X0_I0+2+0+0+1], v[vgprValuA_X0_I0+2+0+0:vgprValuA_X0_I0+2+0+0+1], a[12:15]
/*  mfmaIndex:3  */
_ds_load_b32 v[vgprValuB_X1_I0_D2+0], v[vgprLocalReadAddrB] offset:35328 // L -> Reg lro=1024 swapByteOffset=32768 ti=64 vIdx=0 rIdx=2 oIdx=0 buffer=1 iui=0
_ds_load_b32 v[vgprValuB_X1_I0_D3+0], v[vgprLocalReadAddrB] offset:35456 // L -> Reg lro=1024 swapByteOffset=32768 ti=64 vIdx=0 rIdx=3 oIdx=0 buffer=1 iui=0
s_sub_u32 s[sgprShadowLimitA+0], s[sgprShadowLimitA+0], s[sgprGlobalReadIncsA+0] // limit -= inc)
s_subb_u32 s[sgprShadowLimitA+1], s[sgprShadowLimitA+1], 0 // limit -= inc)
s_cmp_eq_u32 s[sgprShadowLimitA+1], 0              // are we within 2^32?
s_cmov_b32 s[sgprSrdA+2], s[sgprShadowLimitA+0]    // Move shadow to real if we are within 2^32

/* global read inc B loopL */
s_add_u32 s[sgprSrdB+0], s[sgprSrdB+0], s[sgprGlobalReadIncsB+0] // gra SRD += inc(lower)
s_addc_u32  s[sgprSrdB+1], s[sgprSrdB+1], 0        // gra SRD += inc(upper)
s_sub_u32 s[sgprShadowLimitB+0], s[sgprShadowLimitB+0], s[sgprGlobalReadIncsB+0] // limit -= inc)
v_mfma_f32_16x16x16_bf16 a[8+0:11+0], v[vgprValuB_X0_I0+2+0+0:vgprValuB_X0_I0+2+0+0+1], v[vgprValuA_X0_I0+0+0+0:vgprValuA_X0_I0+0+0+0+1], a[8:11]
/* numPrefetchIter=0 */
/* dataAtIterA=-1 numReadsIterA=1 skipReadsIterA=1 readsPerIterA=4 */
/* dataAtIterB=-1 numReadsIterB=1 skipReadsIterB=1 readsPerIterB=4 */


/* iter 1 (swap and reset local write pointers iteration)  */

/*  grEndMfmaIndex:6, lwStartMfmaIndex:6, lwEndMfmaIndex:6  */
/*  numMfmaForLR:3, barrierMfmaIndex:12, LocalWritePerMfma:16.000 */
/*  mfmaIndex:4  */
_ds_load_b32 v[vgprValuA_X2_I0_D0+0], v[vgprLocalReadAddrA] offset:37376 // L -> Reg lro=2048 swapByteOffset=32768 ti=64 vIdx=0 rIdx=0 oIdx=0 buffer=2 iui=0
_ds_load_b32 v[vgprValuA_X2_I0_D1+0], v[vgprLocalReadAddrA] offset:37504 // L -> Reg lro=2048 swapByteOffset=32768 ti=64 vIdx=0 rIdx=1 oIdx=0 buffer=2 iui=0
s_subb_u32 s[sgprShadowLimitB+1], s[sgprShadowLimitB+1], 0 // limit -= inc)
s_waitcnt lgkmcnt(2)                               // lgkmcnt=0 vmcnt=-1wait for prior local read local write old=0, new=2 newLW=0 newLR=2
/* pack scheduling: packAIdx:2, packBIdx:2 */
v_perm_b32 v[vgprValuA_X1_I0+0], v[vgprValuA_X1_I0_D1+0], v[vgprValuA_X1_I0_D0+0], s[sgprPackKForV0] // select K=01 for vector=0
v_perm_b32 v[vgprValuA_X1_I0+1], v[vgprValuA_X1_I0_D3+0], v[vgprValuA_X1_I0_D2+0], s[sgprPackKForV0] // select K=23 for vector=0
v_perm_b32 v[vgprValuB_X1_I0+0], v[vgprValuB_X1_I0_D1+0], v[vgprValuB_X1_I0_D0+0], s[sgprPackKForV0] // select K=01 for vector=0
v_perm_b32 v[vgprValuB_X1_I0+1], v[vgprValuB_X1_I0_D3+0], v[vgprValuB_X1_I0_D2+0], s[sgprPackKForV0] // select K=23 for vector=0
v_perm_b32 v[vgprValuA_X1_I0+2], v[vgprValuA_X1_I0_D1+0], v[vgprValuA_X1_I0_D0+0], s[sgprPackKForV1] // select K=01 for vector=1
v_perm_b32 v[vgprValuA_X1_I0+3], v[vgprValuA_X1_I0_D3+0], v[vgprValuA_X1_I0_D2+0], s[sgprPackKForV1] // select K=23 for vector=1
v_mfma_f32_16x16x16_bf16 a[0+0:3+0], v[vgprValuB_X1_I0+0+0+0:vgprValuB_X1_I0+0+0+0+1], v[vgprValuA_X1_I0+0+0+0:vgprValuA_X1_I0+0+0+0+1], a[0:3]
/*  mfmaIndex:5  */
_ds_load_b32 v[vgprValuA_X2_I0_D2+0], v[vgprLocalReadAddrA] offset:37632 // L -> Reg lro=2048 swapByteOffset=32768 ti=64 vIdx=0 rIdx=2 oIdx=0 buffer=2 iui=0
_ds_load_b32 v[vgprValuA_X2_I0_D3+0], v[vgprLocalReadAddrA] offset:37760 // L -> Reg lro=2048 swapByteOffset=32768 ti=64 vIdx=0 rIdx=3 oIdx=0 buffer=2 iui=0
s_cmp_eq_u32 s[sgprShadowLimitB+1], 0              // are we within 2^32?
/* pack scheduling: packAIdx:4, packBIdx:2 */
v_perm_b32 v[vgprValuB_X1_I0+2], v[vgprValuB_X1_I0_D1+0], v[vgprValuB_X1_I0_D0+0], s[sgprPackKForV1] // select K=01 for vector=1
v_perm_b32 v[vgprValuB_X1_I0+3], v[vgprValuB_X1_I0_D3+0], v[vgprValuB_X1_I0_D2+0], s[sgprPackKForV1] // select K=23 for vector=1
v_mfma_f32_16x16x16_bf16 a[4+0:7+0], v[vgprValuB_X1_I0+0+0+0:vgprValuB_X1_I0+0+0+0+1], v[vgprValuA_X1_I0+2+0+0:vgprValuA_X1_I0+2+0+0+1], a[4:7]
/*  mfmaIndex:6  */
_ds_load_b32 v[vgprValuB_X2_I0_D0+0], v[vgprLocalReadAddrB] offset:37376 // L -> Reg lro=2048 swapByteOffset=32768 ti=64 vIdx=0 rIdx=0 oIdx=0 buffer=2 iui=0
_ds_load_b32 v[vgprValuB_X2_I0_D1+0], v[vgprLocalReadAddrB] offset:37504 // L -> Reg lro=2048 swapByteOffset=32768 ti=64 vIdx=0 rIdx=1 oIdx=0 buffer=2 iui=0
s_cmov_b32 s[sgprSrdB+2], s[sgprShadowLimitB+0]    // Move shadow to real if we are within 2^32
/* sched write - iter 1 writesPerItem=1 */
s_waitcnt vmcnt(0)                                 // lgkmcnt=-1 vmcnt=0wait for global read before writing to local
_ds_store_b32 v[vgprLocalWriteAddrA], v[vgprG2LA+0] offset:0 // lwoA_0_0_0_0 = (0*LSCA) + (0*LSPA)(*MT0I+PAD) = 0
_buffer_load_b32 v[vgprG2LA+0], v[vgprGlobalReadOffsetA+0], s[sgprSrdA:sgprSrdA+3], 0, offen offset:0 // G -> Reg 0_0_0_0
/* sched write - iter 1 writesPerItem=1 */
s_waitcnt vmcnt(0)                                 // lgkmcnt=-1 vmcnt=0wait for global read before writing to local
_ds_store_b32 v[vgprLocalWriteAddrA], v[vgprG2LA+1] offset:256 // lwoA_0_0_1_0 = (0*LSCA) + (1*LSPA)(*MT0I+PAD) = 256
_buffer_load_b32 v[vgprG2LA+1], v[vgprGlobalReadOffsetA+1], s[sgprSrdA:sgprSrdA+3], 0, offen offset:0 // G -> Reg 0_0_1_0
/* sched write - iter 1 writesPerItem=1 */
s_waitcnt vmcnt(0)                                 // lgkmcnt=-1 vmcnt=0wait for global read before writing to local
_ds_store_b32 v[vgprLocalWriteAddrA], v[vgprG2LA+2] offset:576 // lwoA_0_0_2_0 = (0*LSCA) + (2*LSPA)(*MT0I+PAD) = 576
_buffer_load_b32 v[vgprG2LA+2], v[vgprGlobalReadOffsetA+2], s[sgprSrdA:sgprSrdA+3], 0, offen offset:0 // G -> Reg 0_0_2_0
/* sched write - iter 1 writesPerItem=1 */
s_waitcnt vmcnt(0)                                 // lgkmcnt=-1 vmcnt=0wait for global read before writing to local
_ds_store_b32 v[vgprLocalWriteAddrA], v[vgprG2LA+3] offset:832 // lwoA_0_0_3_0 = (0*LSCA) + (3*LSPA)(*MT0I+PAD) = 832
_buffer_load_b32 v[vgprG2LA+3], v[vgprGlobalReadOffsetA+3], s[sgprSrdA:sgprSrdA+3], 0, offen offset:0 // G -> Reg 0_0_3_0
/* sched write - iter 1 writesPerItem=1 */
s_waitcnt vmcnt(0)                                 // lgkmcnt=-1 vmcnt=0wait for global read before writing to local
_ds_store_b32 v[vgprLocalWriteAddrA], v[vgprG2LA+4] offset:1152 // lwoA_0_0_4_0 = (0*LSCA) + (4*LSPA)(*MT0I+PAD) = 1152
_buffer_load_b32 v[vgprG2LA+4], v[vgprGlobalReadOffsetA+4], s[sgprSrdA:sgprSrdA+3], 0, offen offset:0 // G -> Reg 0_0_4_0
/* sched write - iter 1 writesPerItem=1 */
s_waitcnt vmcnt(0)                                 // lgkmcnt=-1 vmcnt=0wait for global read before writing to local
_ds_store_b32 v[vgprLocalWriteAddrA], v[vgprG2LA+5] offset:1408 // lwoA_0_0_5_0 = (0*LSCA) + (5*LSPA)(*MT0I+PAD) = 1408
_buffer_load_b32 v[vgprG2LA+5], v[vgprGlobalReadOffsetA+5], s[sgprSrdA:sgprSrdA+3], 0, offen offset:0 // G -> Reg 0_0_5_0
/* sched write - iter 1 writesPerItem=1 */
s_waitcnt vmcnt(0)                                 // lgkmcnt=-1 vmcnt=0wait for global read before writing to local
_ds_store_b32 v[vgprLocalWriteAddrA], v[vgprG2LA+6] offset:1728 // lwoA_0_0_6_0 = (0*LSCA) + (6*LSPA)(*MT0I+PAD) = 1728
_buffer_load_b32 v[vgprG2LA+6], v[vgprGlobalReadOffsetA+6], s[sgprSrdA:sgprSrdA+3], 0, offen offset:0 // G -> Reg 0_0_6_0
/* sched write - iter 1 writesPerItem=1 */
s_waitcnt vmcnt(0)                                 // lgkmcnt=-1 vmcnt=0wait for global read before writing to local
_ds_store_b32 v[vgprLocalWriteAddrA], v[vgprG2LA+7] offset:1984 // lwoA_0_0_7_0 = (0*LSCA) + (7*LSPA)(*MT0I+PAD) = 1984
_buffer_load_b32 v[vgprG2LA+7], v[vgprGlobalReadOffsetA+7], s[sgprSrdA:sgprSrdA+3], 0, offen offset:0 // G -> Reg 0_0_7_0
/* sched write - iter 1 writesPerItem=1 */
s_waitcnt vmcnt(0)                                 // lgkmcnt=-1 vmcnt=0wait for global read before writing to local
_ds_store_b32 v[vgprLocalWriteAddrB], v[vgprG2LB+0] offset:0 // lwoB_0_0_0_0 = (0*LSCB) + (0*LSPB)(*MT1J+PAD) = 0
_buffer_load_b32 v[vgprG2LB+0], v[vgprGlobalReadOffsetB+0], s[sgprSrdB:sgprSrdB+3], 0, offen offset:0 // G -> Reg 0_0_0_0
/* sched write - iter 1 writesPerItem=1 */
s_waitcnt vmcnt(0)                                 // lgkmcnt=-1 vmcnt=0wait for global read before writing to local
_ds_store_b32 v[vgprLocalWriteAddrB], v[vgprG2LB+1] offset:1152 // lwoB_0_0_1_0 = (0*LSCB) + (1*LSPB)(*MT1J+PAD) = 1152
_buffer_load_b32 v[vgprG2LB+1], v[vgprGlobalReadOffsetB+1], s[sgprSrdB:sgprSrdB+3], 0, offen offset:0 // G -> Reg 0_0_1_0
/* sched write - iter 1 writesPerItem=1 */
s_waitcnt vmcnt(0)                                 // lgkmcnt=-1 vmcnt=0wait for global read before writing to local
_ds_store_b32 v[vgprLocalWriteAddrB], v[vgprG2LB+2] offset:2304 // lwoB_0_0_2_0 = (0*LSCB) + (2*LSPB)(*MT1J+PAD) = 2304
_buffer_load_b32 v[vgprG2LB+2], v[vgprGlobalReadOffsetB+2], s[sgprSrdB:sgprSrdB+3], 0, offen offset:0 // G -> Reg 0_0_2_0
/* sched write - iter 1 writesPerItem=1 */
s_waitcnt vmcnt(0)                                 // lgkmcnt=-1 vmcnt=0wait for global read before writing to local
_ds_store_b32 v[vgprLocalWriteAddrB], v[vgprG2LB+3] offset:3456 // lwoB_0_0_3_0 = (0*LSCB) + (3*LSPB)(*MT1J+PAD) = 3456
_buffer_load_b32 v[vgprG2LB+3], v[vgprGlobalReadOffsetB+3], s[sgprSrdB:sgprSrdB+3], 0, offen offset:0 // G -> Reg 0_0_3_0
/* sched write - iter 1 writesPerItem=1 */
s_waitcnt vmcnt(0)                                 // lgkmcnt=-1 vmcnt=0wait for global read before writing to local
_ds_store_b32 v[vgprLocalWriteAddrB], v[vgprG2LB+4] offset:4608 // lwoB_0_0_4_0 = (0*LSCB) + (4*LSPB)(*MT1J+PAD) = 4608
_buffer_load_b32 v[vgprG2LB+4], v[vgprGlobalReadOffsetB+4], s[sgprSrdB:sgprSrdB+3], 0, offen offset:0 // G -> Reg 0_0_4_0
/* sched write - iter 1 writesPerItem=1 */
s_waitcnt vmcnt(0)                                 // lgkmcnt=-1 vmcnt=0wait for global read before writing to local
_ds_store_b32 v[vgprLocalWriteAddrB], v[vgprG2LB+5] offset:5760 // lwoB_0_0_5_0 = (0*LSCB) + (5*LSPB)(*MT1J+PAD) = 5760
_buffer_load_b32 v[vgprG2LB+5], v[vgprGlobalReadOffsetB+5], s[sgprSrdB:sgprSrdB+3], 0, offen offset:0 // G -> Reg 0_0_5_0
/* sched write - iter 1 writesPerItem=1 */
s_waitcnt vmcnt(0)                                 // lgkmcnt=-1 vmcnt=0wait for global read before writing to local
_ds_store_b32 v[vgprLocalWriteAddrB], v[vgprG2LB+6] offset:6912 // lwoB_0_0_6_0 = (0*LSCB) + (6*LSPB)(*MT1J+PAD) = 6912
_buffer_load_b32 v[vgprG2LB+6], v[vgprGlobalReadOffsetB+6], s[sgprSrdB:sgprSrdB+3], 0, offen offset:0 // G -> Reg 0_0_6_0
/* sched write - iter 1 writesPerItem=1 */
s_waitcnt vmcnt(0)                                 // lgkmcnt=-1 vmcnt=0wait for global read before writing to local
_ds_store_b32 v[vgprLocalWriteAddrB], v[vgprG2LB+7] offset:8064 // lwoB_0_0_7_0 = (0*LSCB) + (7*LSPB)(*MT1J+PAD) = 8064
_buffer_load_b32 v[vgprG2LB+7], v[vgprGlobalReadOffsetB+7], s[sgprSrdB:sgprSrdB+3], 0, offen offset:0 // G -> Reg 0_0_7_0

/* local write swap offsets a */

/* (EPS=1) local write swap internal offset -> 32768 */

/* local write swap offsets b */

/* (EPS=1) local write swap internal offset -> 32768 */
v_mfma_f32_16x16x16_bf16 a[12+0:15+0], v[vgprValuB_X1_I0+2+0+0:vgprValuB_X1_I0+2+0+0+1], v[vgprValuA_X1_I0+2+0+0:vgprValuA_X1_I0+2+0+0+1], a[12:15]
/*  mfmaIndex:7  */
_ds_load_b32 v[vgprValuB_X2_I0_D2+0], v[vgprLocalReadAddrB] offset:37632 // L -> Reg lro=2048 swapByteOffset=32768 ti=64 vIdx=0 rIdx=2 oIdx=0 buffer=2 iui=0
_ds_load_b32 v[vgprValuB_X2_I0_D3+0], v[vgprLocalReadAddrB] offset:37760 // L -> Reg lro=2048 swapByteOffset=32768 ti=64 vIdx=0 rIdx=3 oIdx=0 buffer=2 iui=0
v_mfma_f32_16x16x16_bf16 a[8+0:11+0], v[vgprValuB_X1_I0+2+0+0:vgprValuB_X1_I0+2+0+0+1], v[vgprValuA_X1_I0+0+0+0:vgprValuA_X1_I0+0+0+0+1], a[8:11]
/* numPrefetchIter=0 */
/* dataAtIterA=0 numReadsIterA=2 skipReadsIterA=1 readsPerIterA=4 */
/* dataAtIterB=0 numReadsIterB=2 skipReadsIterB=1 readsPerIterB=4 */


/* iter 2 (reset local read pointers iteration)  (swap local read pointers iteration)  */

/*  grEndMfmaIndex:6, lwStartMfmaIndex:6, lwEndMfmaIndex:6  */
/*  numMfmaForLR:3, barrierMfmaIndex:12, LocalWritePerMfma:16.000 */
/*  mfmaIndex:8  */
_ds_load_b32 v[vgprValuA_X3_I0_D0+0], v[vgprLocalReadAddrA] offset:39680 // L -> Reg lro=3072 swapByteOffset=32768 ti=64 vIdx=0 rIdx=0 oIdx=0 buffer=3 iui=0
_ds_load_b32 v[vgprValuA_X3_I0_D1+0], v[vgprLocalReadAddrA] offset:39808 // L -> Reg lro=3072 swapByteOffset=32768 ti=64 vIdx=0 rIdx=1 oIdx=0 buffer=3 iui=0
s_waitcnt lgkmcnt(2)                               // lgkmcnt=0 vmcnt=-1wait for prior local read local write old=0, new=2 newLW=0 newLR=2
/* pack scheduling: packAIdx:2, packBIdx:2 */
v_perm_b32 v[vgprValuA_X2_I0+0], v[vgprValuA_X2_I0_D1+0], v[vgprValuA_X2_I0_D0+0], s[sgprPackKForV0] // select K=01 for vector=0
v_perm_b32 v[vgprValuA_X2_I0+1], v[vgprValuA_X2_I0_D3+0], v[vgprValuA_X2_I0_D2+0], s[sgprPackKForV0] // select K=23 for vector=0
v_perm_b32 v[vgprValuB_X2_I0+0], v[vgprValuB_X2_I0_D1+0], v[vgprValuB_X2_I0_D0+0], s[sgprPackKForV0] // select K=01 for vector=0
v_perm_b32 v[vgprValuB_X2_I0+1], v[vgprValuB_X2_I0_D3+0], v[vgprValuB_X2_I0_D2+0], s[sgprPackKForV0] // select K=23 for vector=0
v_perm_b32 v[vgprValuA_X2_I0+2], v[vgprValuA_X2_I0_D1+0], v[vgprValuA_X2_I0_D0+0], s[sgprPackKForV1] // select K=01 for vector=1
v_perm_b32 v[vgprValuA_X2_I0+3], v[vgprValuA_X2_I0_D3+0], v[vgprValuA_X2_I0_D2+0], s[sgprPackKForV1] // select K=23 for vector=1
v_mfma_f32_16x16x16_bf16 a[0+0:3+0], v[vgprValuB_X2_I0+0+0+0:vgprValuB_X2_I0+0+0+0+1], v[vgprValuA_X2_I0+0+0+0:vgprValuA_X2_I0+0+0+0+1], a[0:3]
/*  mfmaIndex:9  */
_ds_load_b32 v[vgprValuA_X3_I0_D2+0], v[vgprLocalReadAddrA] offset:39936 // L -> Reg lro=3072 swapByteOffset=32768 ti=64 vIdx=0 rIdx=2 oIdx=0 buffer=3 iui=0
_ds_load_b32 v[vgprValuA_X3_I0_D3+0], v[vgprLocalReadAddrA] offset:40064 // L -> Reg lro=3072 swapByteOffset=32768 ti=64 vIdx=0 rIdx=3 oIdx=0 buffer=3 iui=0
/* pack scheduling: packAIdx:4, packBIdx:2 */
v_perm_b32 v[vgprValuB_X2_I0+2], v[vgprValuB_X2_I0_D1+0], v[vgprValuB_X2_I0_D0+0], s[sgprPackKForV1] // select K=01 for vector=1
v_perm_b32 v[vgprValuB_X2_I0+3], v[vgprValuB_X2_I0_D3+0], v[vgprValuB_X2_I0_D2+0], s[sgprPackKForV1] // select K=23 for vector=1
v_mfma_f32_16x16x16_bf16 a[4+0:7+0], v[vgprValuB_X2_I0+0+0+0:vgprValuB_X2_I0+0+0+0+1], v[vgprValuA_X2_I0+2+0+0:vgprValuA_X2_I0+2+0+0+1], a[4:7]
/*  mfmaIndex:10  */
_ds_load_b32 v[vgprValuB_X3_I0_D0+0], v[vgprLocalReadAddrB] offset:39680 // L -> Reg lro=3072 swapByteOffset=32768 ti=64 vIdx=0 rIdx=0 oIdx=0 buffer=3 iui=0
_ds_load_b32 v[vgprValuB_X3_I0_D1+0], v[vgprLocalReadAddrB] offset:39808 // L -> Reg lro=3072 swapByteOffset=32768 ti=64 vIdx=0 rIdx=1 oIdx=0 buffer=3 iui=0
v_mfma_f32_16x16x16_bf16 a[12+0:15+0], v[vgprValuB_X2_I0+2+0+0:vgprValuB_X2_I0+2+0+0+1], v[vgprValuA_X2_I0+2+0+0:vgprValuA_X2_I0+2+0+0+1], a[12:15]
/*  mfmaIndex:11  */
_ds_load_b32 v[vgprValuB_X3_I0_D2+0], v[vgprLocalReadAddrB] offset:39936 // L -> Reg lro=3072 swapByteOffset=32768 ti=64 vIdx=0 rIdx=2 oIdx=0 buffer=3 iui=0
_ds_load_b32 v[vgprValuB_X3_I0_D3+0], v[vgprLocalReadAddrB] offset:40064 // L -> Reg lro=3072 swapByteOffset=32768 ti=64 vIdx=0 rIdx=3 oIdx=0 buffer=3 iui=0

/* local read swap offsets a */

/* local read swap internal offset -> 0 */

/* local read swap offsets b */

/* local read swap internal offset -> 0 */

/* local read init pointers a */

/* localReadInitPointers */

/* local read init pointers b */

/* localReadInitPointers */
v_mfma_f32_16x16x16_bf16 a[8+0:11+0], v[vgprValuB_X2_I0+2+0+0:vgprValuB_X2_I0+2+0+0+1], v[vgprValuA_X2_I0+0+0+0:vgprValuA_X2_I0+0+0+0+1], a[8:11]
/* numPrefetchIter=0 */
/* dataAtIterA=1 numReadsIterA=3 skipReadsIterA=1 readsPerIterA=4 */
/* dataAtIterB=1 numReadsIterB=3 skipReadsIterB=1 readsPerIterB=4 */


/* iter 3 */

/*  grEndMfmaIndex:6, lwStartMfmaIndex:6, lwEndMfmaIndex:6  */
/*  numMfmaForLR:3, barrierMfmaIndex:12, LocalWritePerMfma:16.000 */
/*  mfmaIndex:12  */
s_waitcnt lgkmcnt(0)                               // lgkmcnt=0 vmcnt=-13wait for local write
// Skip force waitcnt0
s_barrier //
s_waitcnt lgkmcnt(0)                               // lgkmcnt=0 vmcnt=-1wait for prior local read local write old=0, new=0 newLW=0 newLR=0
/* pack scheduling: packAIdx:2, packBIdx:2 */
v_perm_b32 v[vgprValuA_X3_I0+0], v[vgprValuA_X3_I0_D1+0], v[vgprValuA_X3_I0_D0+0], s[sgprPackKForV0] // select K=01 for vector=0
v_perm_b32 v[vgprValuA_X3_I0+1], v[vgprValuA_X3_I0_D3+0], v[vgprValuA_X3_I0_D2+0], s[sgprPackKForV0] // select K=23 for vector=0
v_perm_b32 v[vgprValuB_X3_I0+0], v[vgprValuB_X3_I0_D1+0], v[vgprValuB_X3_I0_D0+0], s[sgprPackKForV0] // select K=01 for vector=0
v_perm_b32 v[vgprValuB_X3_I0+1], v[vgprValuB_X3_I0_D3+0], v[vgprValuB_X3_I0_D2+0], s[sgprPackKForV0] // select K=23 for vector=0
v_perm_b32 v[vgprValuA_X3_I0+2], v[vgprValuA_X3_I0_D1+0], v[vgprValuA_X3_I0_D0+0], s[sgprPackKForV1] // select K=01 for vector=1
v_perm_b32 v[vgprValuA_X3_I0+3], v[vgprValuA_X3_I0_D3+0], v[vgprValuA_X3_I0_D2+0], s[sgprPackKForV1] // select K=23 for vector=1
v_mfma_f32_16x16x16_bf16 a[0+0:3+0], v[vgprValuB_X3_I0+0+0+0:vgprValuB_X3_I0+0+0+0+1], v[vgprValuA_X3_I0+0+0+0:vgprValuA_X3_I0+0+0+0+1], a[0:3]
/*  mfmaIndex:13  */
_ds_load_b32 v[vgprValuA_X0_I0_D0+0], v[vgprLocalReadAddrA] offset:0 // L -> Reg lro=0 swapByteOffset=0 ti=64 vIdx=0 rIdx=0 oIdx=0 buffer=0 iui=0
_ds_load_b32 v[vgprValuA_X0_I0_D1+0], v[vgprLocalReadAddrA] offset:128 // L -> Reg lro=0 swapByteOffset=0 ti=64 vIdx=0 rIdx=1 oIdx=0 buffer=0 iui=0
_ds_load_b32 v[vgprValuA_X0_I0_D2+0], v[vgprLocalReadAddrA] offset:256 // L -> Reg lro=0 swapByteOffset=0 ti=64 vIdx=0 rIdx=2 oIdx=0 buffer=0 iui=0
/* pack scheduling: packAIdx:4, packBIdx:2 */
v_perm_b32 v[vgprValuB_X3_I0+2], v[vgprValuB_X3_I0_D1+0], v[vgprValuB_X3_I0_D0+0], s[sgprPackKForV1] // select K=01 for vector=1
v_perm_b32 v[vgprValuB_X3_I0+3], v[vgprValuB_X3_I0_D3+0], v[vgprValuB_X3_I0_D2+0], s[sgprPackKForV1] // select K=23 for vector=1
v_mfma_f32_16x16x16_bf16 a[4+0:7+0], v[vgprValuB_X3_I0+0+0+0:vgprValuB_X3_I0+0+0+0+1], v[vgprValuA_X3_I0+2+0+0:vgprValuA_X3_I0+2+0+0+1], a[4:7]
/*  mfmaIndex:14  */
_ds_load_b32 v[vgprValuA_X0_I0_D3+0], v[vgprLocalReadAddrA] offset:384 // L -> Reg lro=0 swapByteOffset=0 ti=64 vIdx=0 rIdx=3 oIdx=0 buffer=0 iui=0
_ds_load_b32 v[vgprValuB_X0_I0_D0+0], v[vgprLocalReadAddrB] offset:0 // L -> Reg lro=0 swapByteOffset=0 ti=64 vIdx=0 rIdx=0 oIdx=0 buffer=0 iui=0
_ds_load_b32 v[vgprValuB_X0_I0_D1+0], v[vgprLocalReadAddrB] offset:128 // L -> Reg lro=0 swapByteOffset=0 ti=64 vIdx=0 rIdx=1 oIdx=0 buffer=0 iui=0
v_mfma_f32_16x16x16_bf16 a[12+0:15+0], v[vgprValuB_X3_I0+2+0+0:vgprValuB_X3_I0+2+0+0+1], v[vgprValuA_X3_I0+2+0+0:vgprValuA_X3_I0+2+0+0+1], a[12:15]
/*  mfmaIndex:15  */
_ds_load_b32 v[vgprValuB_X0_I0_D2+0], v[vgprLocalReadAddrB] offset:256 // L -> Reg lro=0 swapByteOffset=0 ti=64 vIdx=0 rIdx=2 oIdx=0 buffer=0 iui=0
_ds_load_b32 v[vgprValuB_X0_I0_D3+0], v[vgprLocalReadAddrB] offset:384 // L -> Reg lro=0 swapByteOffset=0 ti=64 vIdx=0 rIdx=3 oIdx=0 buffer=0 iui=0
v_mfma_f32_16x16x16_bf16 a[8+0:11+0], v[vgprValuB_X3_I0+2+0+0:vgprValuB_X3_I0+2+0+0+1], v[vgprValuA_X3_I0+0+0+0:vgprValuA_X3_I0+0+0+0+1], a[8:11]
/* numPrefetchIter=1 */
/* dataAtIterA=2 numReadsIterA=3 skipReadsIterA=1 readsPerIterA=4 */
/* dataAtIterB=2 numReadsIterB=3 skipReadsIterB=1 readsPerIterB=4 */


/******************************************/
/* Unrolled Loop - End 2/2 (final)        */
/******************************************/


/* closeLoop loopL finalLoop=1 tailLoop=0 */
s_sub_u32 s[sgprLoopCounterL], s[sgprLoopCounterL], 1 // dec counterL
s_cmp_eq_i32 s[sgprLoopCounterL], 0x2              // counterL==2
s_cbranch_scc0 LoopBeginL_1                        // restart LoopL
LoopEndL_evenexit_4: // unroll loop eveniter exit
v_xor_b32 v[vgprLocalWriteAddrA+0], 0x8000, v[vgprLocalWriteAddrA+0] // swap Red Blk
v_xor_b32 v[vgprLocalWriteAddrB+0], 0x8000, v[vgprLocalWriteAddrB+0] // swap Red Blk

/* (EPS=1) local write swap internal offset -> 0 */

/* (EPS=1) local write swap internal offset -> 0 */
s_branch LoopEndL_2                                // exit unroll loopL (and skip second exit code)
LoopEndL_oddexit_3: // unroll loop odditer exit

/* Select high bank of LDS */
v_xor_b32 v[vgprLocalReadAddrA], 0x8000, v[vgprLocalReadAddrA] // swap Red Blk
v_xor_b32 v[vgprLocalReadAddrB], 0x8000, v[vgprLocalReadAddrB] // swap Red Blk
LoopEndL_2:


/* Before NLL: Check VGPR.checkin for INT8 LW */


/******************************************/
/* Ord. NoGlobalLoadLoop - Begin                                      */
/******************************************/


	;; [unrolled: 1-line block ×3, first 2 shown]
/* iter 0 */

/*  grEndMfmaIndex:6, lwStartMfmaIndex:6, lwEndMfmaIndex:6  */
/*  numMfmaForLR:3, barrierMfmaIndex:12, LocalWritePerMfma:16.000 */
/*  mfmaIndex:0  */
s_waitcnt lgkmcnt(0)                               // lgkmcnt=0 vmcnt=-1wait for prior local read local write old=0, new=0 newLW=0 newLR=0
/* pack scheduling: packAIdx:2, packBIdx:2 */
v_perm_b32 v[vgprValuA_X0_I0+0], v[vgprValuA_X0_I0_D1+0], v[vgprValuA_X0_I0_D0+0], s[sgprPackKForV0] // select K=01 for vector=0
v_perm_b32 v[vgprValuA_X0_I0+1], v[vgprValuA_X0_I0_D3+0], v[vgprValuA_X0_I0_D2+0], s[sgprPackKForV0] // select K=23 for vector=0
v_perm_b32 v[vgprValuB_X0_I0+0], v[vgprValuB_X0_I0_D1+0], v[vgprValuB_X0_I0_D0+0], s[sgprPackKForV0] // select K=01 for vector=0
v_perm_b32 v[vgprValuB_X0_I0+1], v[vgprValuB_X0_I0_D3+0], v[vgprValuB_X0_I0_D2+0], s[sgprPackKForV0] // select K=23 for vector=0
v_perm_b32 v[vgprValuA_X0_I0+2], v[vgprValuA_X0_I0_D1+0], v[vgprValuA_X0_I0_D0+0], s[sgprPackKForV1] // select K=01 for vector=1
v_perm_b32 v[vgprValuA_X0_I0+3], v[vgprValuA_X0_I0_D3+0], v[vgprValuA_X0_I0_D2+0], s[sgprPackKForV1] // select K=23 for vector=1
v_mfma_f32_16x16x16_bf16 a[0+0:3+0], v[vgprValuB_X0_I0+0+0+0:vgprValuB_X0_I0+0+0+0+1], v[vgprValuA_X0_I0+0+0+0:vgprValuA_X0_I0+0+0+0+1], a[0:3]
/*  mfmaIndex:1  */
_ds_load_b32 v[vgprValuA_X1_I0_D0+0], v[vgprLocalReadAddrA] offset:2304 // L -> Reg lro=1024 swapByteOffset=0 ti=64 vIdx=0 rIdx=0 oIdx=0 buffer=1 iui=0
_ds_load_b32 v[vgprValuA_X1_I0_D1+0], v[vgprLocalReadAddrA] offset:2432 // L -> Reg lro=1024 swapByteOffset=0 ti=64 vIdx=0 rIdx=1 oIdx=0 buffer=1 iui=0
_ds_load_b32 v[vgprValuA_X1_I0_D2+0], v[vgprLocalReadAddrA] offset:2560 // L -> Reg lro=1024 swapByteOffset=0 ti=64 vIdx=0 rIdx=2 oIdx=0 buffer=1 iui=0

/* global read inc A loopL */
s_add_u32 s[sgprSrdA+0], s[sgprSrdA+0], s[sgprGlobalReadIncsA+0] // gra SRD += inc(lower)
/* pack scheduling: packAIdx:4, packBIdx:2 */
v_perm_b32 v[vgprValuB_X0_I0+2], v[vgprValuB_X0_I0_D1+0], v[vgprValuB_X0_I0_D0+0], s[sgprPackKForV1] // select K=01 for vector=1
v_perm_b32 v[vgprValuB_X0_I0+3], v[vgprValuB_X0_I0_D3+0], v[vgprValuB_X0_I0_D2+0], s[sgprPackKForV1] // select K=23 for vector=1
v_mfma_f32_16x16x16_bf16 a[4+0:7+0], v[vgprValuB_X0_I0+0+0+0:vgprValuB_X0_I0+0+0+0+1], v[vgprValuA_X0_I0+2+0+0:vgprValuA_X0_I0+2+0+0+1], a[4:7]
/*  mfmaIndex:2  */
_ds_load_b32 v[vgprValuA_X1_I0_D3+0], v[vgprLocalReadAddrA] offset:2688 // L -> Reg lro=1024 swapByteOffset=0 ti=64 vIdx=0 rIdx=3 oIdx=0 buffer=1 iui=0
_ds_load_b32 v[vgprValuB_X1_I0_D0+0], v[vgprLocalReadAddrB] offset:2304 // L -> Reg lro=1024 swapByteOffset=0 ti=64 vIdx=0 rIdx=0 oIdx=0 buffer=1 iui=0
_ds_load_b32 v[vgprValuB_X1_I0_D1+0], v[vgprLocalReadAddrB] offset:2432 // L -> Reg lro=1024 swapByteOffset=0 ti=64 vIdx=0 rIdx=1 oIdx=0 buffer=1 iui=0
s_addc_u32  s[sgprSrdA+1], s[sgprSrdA+1], 0        // gra SRD += inc(upper)
v_mfma_f32_16x16x16_bf16 a[12+0:15+0], v[vgprValuB_X0_I0+2+0+0:vgprValuB_X0_I0+2+0+0+1], v[vgprValuA_X0_I0+2+0+0:vgprValuA_X0_I0+2+0+0+1], a[12:15]
/*  mfmaIndex:3  */
_ds_load_b32 v[vgprValuB_X1_I0_D2+0], v[vgprLocalReadAddrB] offset:2560 // L -> Reg lro=1024 swapByteOffset=0 ti=64 vIdx=0 rIdx=2 oIdx=0 buffer=1 iui=0
_ds_load_b32 v[vgprValuB_X1_I0_D3+0], v[vgprLocalReadAddrB] offset:2688 // L -> Reg lro=1024 swapByteOffset=0 ti=64 vIdx=0 rIdx=3 oIdx=0 buffer=1 iui=0
s_sub_u32 s[sgprShadowLimitA+0], s[sgprShadowLimitA+0], s[sgprGlobalReadIncsA+0] // limit -= inc)
s_subb_u32 s[sgprShadowLimitA+1], s[sgprShadowLimitA+1], 0 // limit -= inc)
s_cmp_eq_u32 s[sgprShadowLimitA+1], 0              // are we within 2^32?
s_cmov_b32 s[sgprSrdA+2], s[sgprShadowLimitA+0]    // Move shadow to real if we are within 2^32

/* global read inc B loopL */
s_add_u32 s[sgprSrdB+0], s[sgprSrdB+0], s[sgprGlobalReadIncsB+0] // gra SRD += inc(lower)
s_addc_u32  s[sgprSrdB+1], s[sgprSrdB+1], 0        // gra SRD += inc(upper)
s_sub_u32 s[sgprShadowLimitB+0], s[sgprShadowLimitB+0], s[sgprGlobalReadIncsB+0] // limit -= inc)
v_mfma_f32_16x16x16_bf16 a[8+0:11+0], v[vgprValuB_X0_I0+2+0+0:vgprValuB_X0_I0+2+0+0+1], v[vgprValuA_X0_I0+0+0+0:vgprValuA_X0_I0+0+0+0+1], a[8:11]
/* numPrefetchIter=0 */
/* dataAtIterA=-1 numReadsIterA=1 skipReadsIterA=1 readsPerIterA=4 */
/* dataAtIterB=-1 numReadsIterB=1 skipReadsIterB=1 readsPerIterB=4 */


/* iter 1 (swap and reset local write pointers iteration)  */

/*  grEndMfmaIndex:6, lwStartMfmaIndex:6, lwEndMfmaIndex:6  */
/*  numMfmaForLR:3, barrierMfmaIndex:12, LocalWritePerMfma:16.000 */
/*  mfmaIndex:4  */
_ds_load_b32 v[vgprValuA_X2_I0_D0+0], v[vgprLocalReadAddrA] offset:4608 // L -> Reg lro=2048 swapByteOffset=0 ti=64 vIdx=0 rIdx=0 oIdx=0 buffer=2 iui=0
_ds_load_b32 v[vgprValuA_X2_I0_D1+0], v[vgprLocalReadAddrA] offset:4736 // L -> Reg lro=2048 swapByteOffset=0 ti=64 vIdx=0 rIdx=1 oIdx=0 buffer=2 iui=0
s_subb_u32 s[sgprShadowLimitB+1], s[sgprShadowLimitB+1], 0 // limit -= inc)
s_waitcnt lgkmcnt(2)                               // lgkmcnt=0 vmcnt=-1wait for prior local read local write old=0, new=2 newLW=0 newLR=2
/* pack scheduling: packAIdx:2, packBIdx:2 */
v_perm_b32 v[vgprValuA_X1_I0+0], v[vgprValuA_X1_I0_D1+0], v[vgprValuA_X1_I0_D0+0], s[sgprPackKForV0] // select K=01 for vector=0
v_perm_b32 v[vgprValuA_X1_I0+1], v[vgprValuA_X1_I0_D3+0], v[vgprValuA_X1_I0_D2+0], s[sgprPackKForV0] // select K=23 for vector=0
v_perm_b32 v[vgprValuB_X1_I0+0], v[vgprValuB_X1_I0_D1+0], v[vgprValuB_X1_I0_D0+0], s[sgprPackKForV0] // select K=01 for vector=0
v_perm_b32 v[vgprValuB_X1_I0+1], v[vgprValuB_X1_I0_D3+0], v[vgprValuB_X1_I0_D2+0], s[sgprPackKForV0] // select K=23 for vector=0
v_perm_b32 v[vgprValuA_X1_I0+2], v[vgprValuA_X1_I0_D1+0], v[vgprValuA_X1_I0_D0+0], s[sgprPackKForV1] // select K=01 for vector=1
v_perm_b32 v[vgprValuA_X1_I0+3], v[vgprValuA_X1_I0_D3+0], v[vgprValuA_X1_I0_D2+0], s[sgprPackKForV1] // select K=23 for vector=1
v_mfma_f32_16x16x16_bf16 a[0+0:3+0], v[vgprValuB_X1_I0+0+0+0:vgprValuB_X1_I0+0+0+0+1], v[vgprValuA_X1_I0+0+0+0:vgprValuA_X1_I0+0+0+0+1], a[0:3]
/*  mfmaIndex:5  */
_ds_load_b32 v[vgprValuA_X2_I0_D2+0], v[vgprLocalReadAddrA] offset:4864 // L -> Reg lro=2048 swapByteOffset=0 ti=64 vIdx=0 rIdx=2 oIdx=0 buffer=2 iui=0
_ds_load_b32 v[vgprValuA_X2_I0_D3+0], v[vgprLocalReadAddrA] offset:4992 // L -> Reg lro=2048 swapByteOffset=0 ti=64 vIdx=0 rIdx=3 oIdx=0 buffer=2 iui=0
s_cmp_eq_u32 s[sgprShadowLimitB+1], 0              // are we within 2^32?
/* pack scheduling: packAIdx:4, packBIdx:2 */
v_perm_b32 v[vgprValuB_X1_I0+2], v[vgprValuB_X1_I0_D1+0], v[vgprValuB_X1_I0_D0+0], s[sgprPackKForV1] // select K=01 for vector=1
v_perm_b32 v[vgprValuB_X1_I0+3], v[vgprValuB_X1_I0_D3+0], v[vgprValuB_X1_I0_D2+0], s[sgprPackKForV1] // select K=23 for vector=1
v_mfma_f32_16x16x16_bf16 a[4+0:7+0], v[vgprValuB_X1_I0+0+0+0:vgprValuB_X1_I0+0+0+0+1], v[vgprValuA_X1_I0+2+0+0:vgprValuA_X1_I0+2+0+0+1], a[4:7]
/*  mfmaIndex:6  */
_ds_load_b32 v[vgprValuB_X2_I0_D0+0], v[vgprLocalReadAddrB] offset:4608 // L -> Reg lro=2048 swapByteOffset=0 ti=64 vIdx=0 rIdx=0 oIdx=0 buffer=2 iui=0
_ds_load_b32 v[vgprValuB_X2_I0_D1+0], v[vgprLocalReadAddrB] offset:4736 // L -> Reg lro=2048 swapByteOffset=0 ti=64 vIdx=0 rIdx=1 oIdx=0 buffer=2 iui=0
s_cmov_b32 s[sgprSrdB+2], s[sgprShadowLimitB+0]    // Move shadow to real if we are within 2^32
/* sched write - iter 1 writesPerItem=1 */
s_waitcnt vmcnt(0)                                 // lgkmcnt=-1 vmcnt=0wait for global read before writing to local
_ds_store_b32 v[vgprLocalWriteAddrA], v[vgprG2LA+0] offset:0 // lwoA_0_0_0_0 = (0*LSCA) + (0*LSPA)(*MT0I+PAD) = 0
/* sched write - iter 1 writesPerItem=1 */
s_waitcnt vmcnt(0)                                 // lgkmcnt=-1 vmcnt=0wait for global read before writing to local
_ds_store_b32 v[vgprLocalWriteAddrA], v[vgprG2LA+1] offset:256 // lwoA_0_0_1_0 = (0*LSCA) + (1*LSPA)(*MT0I+PAD) = 256
/* sched write - iter 1 writesPerItem=1 */
s_waitcnt vmcnt(0)                                 // lgkmcnt=-1 vmcnt=0wait for global read before writing to local
_ds_store_b32 v[vgprLocalWriteAddrA], v[vgprG2LA+2] offset:576 // lwoA_0_0_2_0 = (0*LSCA) + (2*LSPA)(*MT0I+PAD) = 576
/* sched write - iter 1 writesPerItem=1 */
s_waitcnt vmcnt(0)                                 // lgkmcnt=-1 vmcnt=0wait for global read before writing to local
_ds_store_b32 v[vgprLocalWriteAddrA], v[vgprG2LA+3] offset:832 // lwoA_0_0_3_0 = (0*LSCA) + (3*LSPA)(*MT0I+PAD) = 832
/* sched write - iter 1 writesPerItem=1 */
s_waitcnt vmcnt(0)                                 // lgkmcnt=-1 vmcnt=0wait for global read before writing to local
_ds_store_b32 v[vgprLocalWriteAddrA], v[vgprG2LA+4] offset:1152 // lwoA_0_0_4_0 = (0*LSCA) + (4*LSPA)(*MT0I+PAD) = 1152
/* sched write - iter 1 writesPerItem=1 */
s_waitcnt vmcnt(0)                                 // lgkmcnt=-1 vmcnt=0wait for global read before writing to local
_ds_store_b32 v[vgprLocalWriteAddrA], v[vgprG2LA+5] offset:1408 // lwoA_0_0_5_0 = (0*LSCA) + (5*LSPA)(*MT0I+PAD) = 1408
/* sched write - iter 1 writesPerItem=1 */
s_waitcnt vmcnt(0)                                 // lgkmcnt=-1 vmcnt=0wait for global read before writing to local
_ds_store_b32 v[vgprLocalWriteAddrA], v[vgprG2LA+6] offset:1728 // lwoA_0_0_6_0 = (0*LSCA) + (6*LSPA)(*MT0I+PAD) = 1728
/* sched write - iter 1 writesPerItem=1 */
s_waitcnt vmcnt(0)                                 // lgkmcnt=-1 vmcnt=0wait for global read before writing to local
_ds_store_b32 v[vgprLocalWriteAddrA], v[vgprG2LA+7] offset:1984 // lwoA_0_0_7_0 = (0*LSCA) + (7*LSPA)(*MT0I+PAD) = 1984
/* sched write - iter 1 writesPerItem=1 */
s_waitcnt vmcnt(0)                                 // lgkmcnt=-1 vmcnt=0wait for global read before writing to local
_ds_store_b32 v[vgprLocalWriteAddrB], v[vgprG2LB+0] offset:0 // lwoB_0_0_0_0 = (0*LSCB) + (0*LSPB)(*MT1J+PAD) = 0
/* sched write - iter 1 writesPerItem=1 */
s_waitcnt vmcnt(0)                                 // lgkmcnt=-1 vmcnt=0wait for global read before writing to local
_ds_store_b32 v[vgprLocalWriteAddrB], v[vgprG2LB+1] offset:1152 // lwoB_0_0_1_0 = (0*LSCB) + (1*LSPB)(*MT1J+PAD) = 1152
/* sched write - iter 1 writesPerItem=1 */
s_waitcnt vmcnt(0)                                 // lgkmcnt=-1 vmcnt=0wait for global read before writing to local
_ds_store_b32 v[vgprLocalWriteAddrB], v[vgprG2LB+2] offset:2304 // lwoB_0_0_2_0 = (0*LSCB) + (2*LSPB)(*MT1J+PAD) = 2304
/* sched write - iter 1 writesPerItem=1 */
s_waitcnt vmcnt(0)                                 // lgkmcnt=-1 vmcnt=0wait for global read before writing to local
_ds_store_b32 v[vgprLocalWriteAddrB], v[vgprG2LB+3] offset:3456 // lwoB_0_0_3_0 = (0*LSCB) + (3*LSPB)(*MT1J+PAD) = 3456
/* sched write - iter 1 writesPerItem=1 */
s_waitcnt vmcnt(0)                                 // lgkmcnt=-1 vmcnt=0wait for global read before writing to local
_ds_store_b32 v[vgprLocalWriteAddrB], v[vgprG2LB+4] offset:4608 // lwoB_0_0_4_0 = (0*LSCB) + (4*LSPB)(*MT1J+PAD) = 4608
/* sched write - iter 1 writesPerItem=1 */
s_waitcnt vmcnt(0)                                 // lgkmcnt=-1 vmcnt=0wait for global read before writing to local
_ds_store_b32 v[vgprLocalWriteAddrB], v[vgprG2LB+5] offset:5760 // lwoB_0_0_5_0 = (0*LSCB) + (5*LSPB)(*MT1J+PAD) = 5760
/* sched write - iter 1 writesPerItem=1 */
s_waitcnt vmcnt(0)                                 // lgkmcnt=-1 vmcnt=0wait for global read before writing to local
_ds_store_b32 v[vgprLocalWriteAddrB], v[vgprG2LB+6] offset:6912 // lwoB_0_0_6_0 = (0*LSCB) + (6*LSPB)(*MT1J+PAD) = 6912
/* sched write - iter 1 writesPerItem=1 */
s_waitcnt vmcnt(0)                                 // lgkmcnt=-1 vmcnt=0wait for global read before writing to local
_ds_store_b32 v[vgprLocalWriteAddrB], v[vgprG2LB+7] offset:8064 // lwoB_0_0_7_0 = (0*LSCB) + (7*LSPB)(*MT1J+PAD) = 8064

/* local write swap offsets a */

/* (EPS=1) local write swap internal offset -> 32768 */

/* local write swap offsets b */

/* (EPS=1) local write swap internal offset -> 32768 */
v_mfma_f32_16x16x16_bf16 a[12+0:15+0], v[vgprValuB_X1_I0+2+0+0:vgprValuB_X1_I0+2+0+0+1], v[vgprValuA_X1_I0+2+0+0:vgprValuA_X1_I0+2+0+0+1], a[12:15]
/*  mfmaIndex:7  */
_ds_load_b32 v[vgprValuB_X2_I0_D2+0], v[vgprLocalReadAddrB] offset:4864 // L -> Reg lro=2048 swapByteOffset=0 ti=64 vIdx=0 rIdx=2 oIdx=0 buffer=2 iui=0
_ds_load_b32 v[vgprValuB_X2_I0_D3+0], v[vgprLocalReadAddrB] offset:4992 // L -> Reg lro=2048 swapByteOffset=0 ti=64 vIdx=0 rIdx=3 oIdx=0 buffer=2 iui=0
v_mfma_f32_16x16x16_bf16 a[8+0:11+0], v[vgprValuB_X1_I0+2+0+0:vgprValuB_X1_I0+2+0+0+1], v[vgprValuA_X1_I0+0+0+0:vgprValuA_X1_I0+0+0+0+1], a[8:11]
/* numPrefetchIter=0 */
/* dataAtIterA=0 numReadsIterA=2 skipReadsIterA=1 readsPerIterA=4 */
/* dataAtIterB=0 numReadsIterB=2 skipReadsIterB=1 readsPerIterB=4 */


/* iter 2 (reset local read pointers iteration)  (swap local read pointers iteration)  */

/*  grEndMfmaIndex:6, lwStartMfmaIndex:6, lwEndMfmaIndex:6  */
/*  numMfmaForLR:3, barrierMfmaIndex:12, LocalWritePerMfma:16.000 */
/*  mfmaIndex:8  */
_ds_load_b32 v[vgprValuA_X3_I0_D0+0], v[vgprLocalReadAddrA] offset:6912 // L -> Reg lro=3072 swapByteOffset=0 ti=64 vIdx=0 rIdx=0 oIdx=0 buffer=3 iui=0
_ds_load_b32 v[vgprValuA_X3_I0_D1+0], v[vgprLocalReadAddrA] offset:7040 // L -> Reg lro=3072 swapByteOffset=0 ti=64 vIdx=0 rIdx=1 oIdx=0 buffer=3 iui=0
s_waitcnt lgkmcnt(2)                               // lgkmcnt=0 vmcnt=-1wait for prior local read local write old=0, new=2 newLW=0 newLR=2
/* pack scheduling: packAIdx:2, packBIdx:2 */
v_perm_b32 v[vgprValuA_X2_I0+0], v[vgprValuA_X2_I0_D1+0], v[vgprValuA_X2_I0_D0+0], s[sgprPackKForV0] // select K=01 for vector=0
v_perm_b32 v[vgprValuA_X2_I0+1], v[vgprValuA_X2_I0_D3+0], v[vgprValuA_X2_I0_D2+0], s[sgprPackKForV0] // select K=23 for vector=0
v_perm_b32 v[vgprValuB_X2_I0+0], v[vgprValuB_X2_I0_D1+0], v[vgprValuB_X2_I0_D0+0], s[sgprPackKForV0] // select K=01 for vector=0
v_perm_b32 v[vgprValuB_X2_I0+1], v[vgprValuB_X2_I0_D3+0], v[vgprValuB_X2_I0_D2+0], s[sgprPackKForV0] // select K=23 for vector=0
v_perm_b32 v[vgprValuA_X2_I0+2], v[vgprValuA_X2_I0_D1+0], v[vgprValuA_X2_I0_D0+0], s[sgprPackKForV1] // select K=01 for vector=1
v_perm_b32 v[vgprValuA_X2_I0+3], v[vgprValuA_X2_I0_D3+0], v[vgprValuA_X2_I0_D2+0], s[sgprPackKForV1] // select K=23 for vector=1
v_mfma_f32_16x16x16_bf16 a[0+0:3+0], v[vgprValuB_X2_I0+0+0+0:vgprValuB_X2_I0+0+0+0+1], v[vgprValuA_X2_I0+0+0+0:vgprValuA_X2_I0+0+0+0+1], a[0:3]
/*  mfmaIndex:9  */
_ds_load_b32 v[vgprValuA_X3_I0_D2+0], v[vgprLocalReadAddrA] offset:7168 // L -> Reg lro=3072 swapByteOffset=0 ti=64 vIdx=0 rIdx=2 oIdx=0 buffer=3 iui=0
_ds_load_b32 v[vgprValuA_X3_I0_D3+0], v[vgprLocalReadAddrA] offset:7296 // L -> Reg lro=3072 swapByteOffset=0 ti=64 vIdx=0 rIdx=3 oIdx=0 buffer=3 iui=0
/* pack scheduling: packAIdx:4, packBIdx:2 */
v_perm_b32 v[vgprValuB_X2_I0+2], v[vgprValuB_X2_I0_D1+0], v[vgprValuB_X2_I0_D0+0], s[sgprPackKForV1] // select K=01 for vector=1
v_perm_b32 v[vgprValuB_X2_I0+3], v[vgprValuB_X2_I0_D3+0], v[vgprValuB_X2_I0_D2+0], s[sgprPackKForV1] // select K=23 for vector=1
v_mfma_f32_16x16x16_bf16 a[4+0:7+0], v[vgprValuB_X2_I0+0+0+0:vgprValuB_X2_I0+0+0+0+1], v[vgprValuA_X2_I0+2+0+0:vgprValuA_X2_I0+2+0+0+1], a[4:7]
/*  mfmaIndex:10  */
_ds_load_b32 v[vgprValuB_X3_I0_D0+0], v[vgprLocalReadAddrB] offset:6912 // L -> Reg lro=3072 swapByteOffset=0 ti=64 vIdx=0 rIdx=0 oIdx=0 buffer=3 iui=0
_ds_load_b32 v[vgprValuB_X3_I0_D1+0], v[vgprLocalReadAddrB] offset:7040 // L -> Reg lro=3072 swapByteOffset=0 ti=64 vIdx=0 rIdx=1 oIdx=0 buffer=3 iui=0
v_mfma_f32_16x16x16_bf16 a[12+0:15+0], v[vgprValuB_X2_I0+2+0+0:vgprValuB_X2_I0+2+0+0+1], v[vgprValuA_X2_I0+2+0+0:vgprValuA_X2_I0+2+0+0+1], a[12:15]
/*  mfmaIndex:11  */
_ds_load_b32 v[vgprValuB_X3_I0_D2+0], v[vgprLocalReadAddrB] offset:7168 // L -> Reg lro=3072 swapByteOffset=0 ti=64 vIdx=0 rIdx=2 oIdx=0 buffer=3 iui=0
_ds_load_b32 v[vgprValuB_X3_I0_D3+0], v[vgprLocalReadAddrB] offset:7296 // L -> Reg lro=3072 swapByteOffset=0 ti=64 vIdx=0 rIdx=3 oIdx=0 buffer=3 iui=0

/* local read swap offsets a */
v_xor_b32 v[vgprLocalReadAddrA], 0x8000, v[vgprLocalReadAddrA] // swap Red Blk

/* local read swap offsets b */
v_xor_b32 v[vgprLocalReadAddrB], 0x8000, v[vgprLocalReadAddrB] // swap Red Blk

/* local read init pointers a */

/* localReadInitPointers */

/* local read init pointers b */

/* localReadInitPointers */
v_mfma_f32_16x16x16_bf16 a[8+0:11+0], v[vgprValuB_X2_I0+2+0+0:vgprValuB_X2_I0+2+0+0+1], v[vgprValuA_X2_I0+0+0+0:vgprValuA_X2_I0+0+0+0+1], a[8:11]
/* numPrefetchIter=0 */
/* dataAtIterA=1 numReadsIterA=3 skipReadsIterA=1 readsPerIterA=4 */
/* dataAtIterB=1 numReadsIterB=3 skipReadsIterB=1 readsPerIterB=4 */


/* iter 3 */

/*  grEndMfmaIndex:6, lwStartMfmaIndex:6, lwEndMfmaIndex:6  */
/*  numMfmaForLR:3, barrierMfmaIndex:12, LocalWritePerMfma:16.000 */
/*  mfmaIndex:12  */
s_waitcnt lgkmcnt(0)                               // lgkmcnt=0 vmcnt=-13wait for local write
// Skip force waitcnt0
s_barrier //
s_waitcnt lgkmcnt(0)                               // lgkmcnt=0 vmcnt=-1wait for prior local read local write old=0, new=0 newLW=0 newLR=0
/* pack scheduling: packAIdx:2, packBIdx:2 */
v_perm_b32 v[vgprValuA_X3_I0+0], v[vgprValuA_X3_I0_D1+0], v[vgprValuA_X3_I0_D0+0], s[sgprPackKForV0] // select K=01 for vector=0
v_perm_b32 v[vgprValuA_X3_I0+1], v[vgprValuA_X3_I0_D3+0], v[vgprValuA_X3_I0_D2+0], s[sgprPackKForV0] // select K=23 for vector=0
v_perm_b32 v[vgprValuB_X3_I0+0], v[vgprValuB_X3_I0_D1+0], v[vgprValuB_X3_I0_D0+0], s[sgprPackKForV0] // select K=01 for vector=0
v_perm_b32 v[vgprValuB_X3_I0+1], v[vgprValuB_X3_I0_D3+0], v[vgprValuB_X3_I0_D2+0], s[sgprPackKForV0] // select K=23 for vector=0
v_perm_b32 v[vgprValuA_X3_I0+2], v[vgprValuA_X3_I0_D1+0], v[vgprValuA_X3_I0_D0+0], s[sgprPackKForV1] // select K=01 for vector=1
v_perm_b32 v[vgprValuA_X3_I0+3], v[vgprValuA_X3_I0_D3+0], v[vgprValuA_X3_I0_D2+0], s[sgprPackKForV1] // select K=23 for vector=1
v_mfma_f32_16x16x16_bf16 a[0+0:3+0], v[vgprValuB_X3_I0+0+0+0:vgprValuB_X3_I0+0+0+0+1], v[vgprValuA_X3_I0+0+0+0:vgprValuA_X3_I0+0+0+0+1], a[0:3]
/*  mfmaIndex:13  */
_ds_load_b32 v[vgprValuA_X0_I0_D0+0], v[vgprLocalReadAddrA] offset:0 // L -> Reg lro=0 swapByteOffset=0 ti=64 vIdx=0 rIdx=0 oIdx=0 buffer=0 iui=0
_ds_load_b32 v[vgprValuA_X0_I0_D1+0], v[vgprLocalReadAddrA] offset:128 // L -> Reg lro=0 swapByteOffset=0 ti=64 vIdx=0 rIdx=1 oIdx=0 buffer=0 iui=0
_ds_load_b32 v[vgprValuA_X0_I0_D2+0], v[vgprLocalReadAddrA] offset:256 // L -> Reg lro=0 swapByteOffset=0 ti=64 vIdx=0 rIdx=2 oIdx=0 buffer=0 iui=0
/* pack scheduling: packAIdx:4, packBIdx:2 */
v_perm_b32 v[vgprValuB_X3_I0+2], v[vgprValuB_X3_I0_D1+0], v[vgprValuB_X3_I0_D0+0], s[sgprPackKForV1] // select K=01 for vector=1
v_perm_b32 v[vgprValuB_X3_I0+3], v[vgprValuB_X3_I0_D3+0], v[vgprValuB_X3_I0_D2+0], s[sgprPackKForV1] // select K=23 for vector=1
v_mfma_f32_16x16x16_bf16 a[4+0:7+0], v[vgprValuB_X3_I0+0+0+0:vgprValuB_X3_I0+0+0+0+1], v[vgprValuA_X3_I0+2+0+0:vgprValuA_X3_I0+2+0+0+1], a[4:7]
/*  mfmaIndex:14  */
_ds_load_b32 v[vgprValuA_X0_I0_D3+0], v[vgprLocalReadAddrA] offset:384 // L -> Reg lro=0 swapByteOffset=0 ti=64 vIdx=0 rIdx=3 oIdx=0 buffer=0 iui=0
_ds_load_b32 v[vgprValuB_X0_I0_D0+0], v[vgprLocalReadAddrB] offset:0 // L -> Reg lro=0 swapByteOffset=0 ti=64 vIdx=0 rIdx=0 oIdx=0 buffer=0 iui=0
_ds_load_b32 v[vgprValuB_X0_I0_D1+0], v[vgprLocalReadAddrB] offset:128 // L -> Reg lro=0 swapByteOffset=0 ti=64 vIdx=0 rIdx=1 oIdx=0 buffer=0 iui=0
v_mfma_f32_16x16x16_bf16 a[12+0:15+0], v[vgprValuB_X3_I0+2+0+0:vgprValuB_X3_I0+2+0+0+1], v[vgprValuA_X3_I0+2+0+0:vgprValuA_X3_I0+2+0+0+1], a[12:15]
/*  mfmaIndex:15  */
_ds_load_b32 v[vgprValuB_X0_I0_D2+0], v[vgprLocalReadAddrB] offset:256 // L -> Reg lro=0 swapByteOffset=0 ti=64 vIdx=0 rIdx=2 oIdx=0 buffer=0 iui=0
_ds_load_b32 v[vgprValuB_X0_I0_D3+0], v[vgprLocalReadAddrB] offset:384 // L -> Reg lro=0 swapByteOffset=0 ti=64 vIdx=0 rIdx=3 oIdx=0 buffer=0 iui=0
v_mfma_f32_16x16x16_bf16 a[8+0:11+0], v[vgprValuB_X3_I0+2+0+0:vgprValuB_X3_I0+2+0+0+1], v[vgprValuA_X3_I0+0+0+0:vgprValuA_X3_I0+0+0+0+1], a[8:11]
/* numPrefetchIter=1 */
/* dataAtIterA=2 numReadsIterA=3 skipReadsIterA=1 readsPerIterA=4 */
/* dataAtIterB=2 numReadsIterB=3 skipReadsIterB=1 readsPerIterB=4 */

label_0014:


/******************************************/
/* Ord. NoLoadLoop - Begin                                      */
/******************************************/


	;; [unrolled: 1-line block ×4, first 2 shown]
/* iter 0 (last unrolled loop) */

/*  grEndMfmaIndex:0, lwStartMfmaIndex:6, lwEndMfmaIndex:6  */
/*  numMfmaForLR:3, barrierMfmaIndex:12, LocalWritePerMfma:16.000 */
/*  mfmaIndex:0  */
s_waitcnt lgkmcnt(0)                               // lgkmcnt=0 vmcnt=-1wait for prior local read local write old=0, new=0 newLW=0 newLR=0
/* pack scheduling: packAIdx:2, packBIdx:2 */
v_perm_b32 v[vgprValuA_X0_I0+0], v[vgprValuA_X0_I0_D1+0], v[vgprValuA_X0_I0_D0+0], s[sgprPackKForV0] // select K=01 for vector=0
v_perm_b32 v[vgprValuA_X0_I0+1], v[vgprValuA_X0_I0_D3+0], v[vgprValuA_X0_I0_D2+0], s[sgprPackKForV0] // select K=23 for vector=0
v_perm_b32 v[vgprValuB_X0_I0+0], v[vgprValuB_X0_I0_D1+0], v[vgprValuB_X0_I0_D0+0], s[sgprPackKForV0] // select K=01 for vector=0
v_perm_b32 v[vgprValuB_X0_I0+1], v[vgprValuB_X0_I0_D3+0], v[vgprValuB_X0_I0_D2+0], s[sgprPackKForV0] // select K=23 for vector=0
v_perm_b32 v[vgprValuA_X0_I0+2], v[vgprValuA_X0_I0_D1+0], v[vgprValuA_X0_I0_D0+0], s[sgprPackKForV1] // select K=01 for vector=1
v_perm_b32 v[vgprValuA_X0_I0+3], v[vgprValuA_X0_I0_D3+0], v[vgprValuA_X0_I0_D2+0], s[sgprPackKForV1] // select K=23 for vector=1
v_mfma_f32_16x16x16_bf16 a[0+0:3+0], v[vgprValuB_X0_I0+0+0+0:vgprValuB_X0_I0+0+0+0+1], v[vgprValuA_X0_I0+0+0+0:vgprValuA_X0_I0+0+0+0+1], a[0:3]
/*  mfmaIndex:1  */
_ds_load_b32 v[vgprValuA_X1_I0_D0+0], v[vgprLocalReadAddrA] offset:2304 // L -> Reg lro=1024 swapByteOffset=0 ti=64 vIdx=0 rIdx=0 oIdx=0 buffer=1 iui=0
_ds_load_b32 v[vgprValuA_X1_I0_D1+0], v[vgprLocalReadAddrA] offset:2432 // L -> Reg lro=1024 swapByteOffset=0 ti=64 vIdx=0 rIdx=1 oIdx=0 buffer=1 iui=0
_ds_load_b32 v[vgprValuA_X1_I0_D2+0], v[vgprLocalReadAddrA] offset:2560 // L -> Reg lro=1024 swapByteOffset=0 ti=64 vIdx=0 rIdx=2 oIdx=0 buffer=1 iui=0
/* pack scheduling: packAIdx:4, packBIdx:2 */
v_perm_b32 v[vgprValuB_X0_I0+2], v[vgprValuB_X0_I0_D1+0], v[vgprValuB_X0_I0_D0+0], s[sgprPackKForV1] // select K=01 for vector=1
v_perm_b32 v[vgprValuB_X0_I0+3], v[vgprValuB_X0_I0_D3+0], v[vgprValuB_X0_I0_D2+0], s[sgprPackKForV1] // select K=23 for vector=1
v_mfma_f32_16x16x16_bf16 a[4+0:7+0], v[vgprValuB_X0_I0+0+0+0:vgprValuB_X0_I0+0+0+0+1], v[vgprValuA_X0_I0+2+0+0:vgprValuA_X0_I0+2+0+0+1], a[4:7]
/*  mfmaIndex:2  */
_ds_load_b32 v[vgprValuA_X1_I0_D3+0], v[vgprLocalReadAddrA] offset:2688 // L -> Reg lro=1024 swapByteOffset=0 ti=64 vIdx=0 rIdx=3 oIdx=0 buffer=1 iui=0
_ds_load_b32 v[vgprValuB_X1_I0_D0+0], v[vgprLocalReadAddrB] offset:2304 // L -> Reg lro=1024 swapByteOffset=0 ti=64 vIdx=0 rIdx=0 oIdx=0 buffer=1 iui=0
_ds_load_b32 v[vgprValuB_X1_I0_D1+0], v[vgprLocalReadAddrB] offset:2432 // L -> Reg lro=1024 swapByteOffset=0 ti=64 vIdx=0 rIdx=1 oIdx=0 buffer=1 iui=0
v_mfma_f32_16x16x16_bf16 a[12+0:15+0], v[vgprValuB_X0_I0+2+0+0:vgprValuB_X0_I0+2+0+0+1], v[vgprValuA_X0_I0+2+0+0:vgprValuA_X0_I0+2+0+0+1], a[12:15]
/*  mfmaIndex:3  */
_ds_load_b32 v[vgprValuB_X1_I0_D2+0], v[vgprLocalReadAddrB] offset:2560 // L -> Reg lro=1024 swapByteOffset=0 ti=64 vIdx=0 rIdx=2 oIdx=0 buffer=1 iui=0
_ds_load_b32 v[vgprValuB_X1_I0_D3+0], v[vgprLocalReadAddrB] offset:2688 // L -> Reg lro=1024 swapByteOffset=0 ti=64 vIdx=0 rIdx=3 oIdx=0 buffer=1 iui=0
v_mfma_f32_16x16x16_bf16 a[8+0:11+0], v[vgprValuB_X0_I0+2+0+0:vgprValuB_X0_I0+2+0+0+1], v[vgprValuA_X0_I0+0+0+0:vgprValuA_X0_I0+0+0+0+1], a[8:11]
/* numPrefetchIter=0 */
/* dataAtIterA=-1 numReadsIterA=1 skipReadsIterA=1 readsPerIterA=4 */
/* dataAtIterB=-1 numReadsIterB=1 skipReadsIterB=1 readsPerIterB=4 */


/* iter 1 (last unrolled loop) */

/*  grEndMfmaIndex:0, lwStartMfmaIndex:6, lwEndMfmaIndex:6  */
/*  numMfmaForLR:3, barrierMfmaIndex:12, LocalWritePerMfma:16.000 */
/*  mfmaIndex:4  */
_ds_load_b32 v[vgprValuA_X2_I0_D0+0], v[vgprLocalReadAddrA] offset:4608 // L -> Reg lro=2048 swapByteOffset=0 ti=64 vIdx=0 rIdx=0 oIdx=0 buffer=2 iui=0
_ds_load_b32 v[vgprValuA_X2_I0_D1+0], v[vgprLocalReadAddrA] offset:4736 // L -> Reg lro=2048 swapByteOffset=0 ti=64 vIdx=0 rIdx=1 oIdx=0 buffer=2 iui=0
s_waitcnt lgkmcnt(2)                               // lgkmcnt=0 vmcnt=-1wait for prior local read local write old=0, new=2 newLW=0 newLR=2
/* pack scheduling: packAIdx:2, packBIdx:2 */
v_perm_b32 v[vgprValuA_X1_I0+0], v[vgprValuA_X1_I0_D1+0], v[vgprValuA_X1_I0_D0+0], s[sgprPackKForV0] // select K=01 for vector=0
v_perm_b32 v[vgprValuA_X1_I0+1], v[vgprValuA_X1_I0_D3+0], v[vgprValuA_X1_I0_D2+0], s[sgprPackKForV0] // select K=23 for vector=0
v_perm_b32 v[vgprValuB_X1_I0+0], v[vgprValuB_X1_I0_D1+0], v[vgprValuB_X1_I0_D0+0], s[sgprPackKForV0] // select K=01 for vector=0
v_perm_b32 v[vgprValuB_X1_I0+1], v[vgprValuB_X1_I0_D3+0], v[vgprValuB_X1_I0_D2+0], s[sgprPackKForV0] // select K=23 for vector=0
v_perm_b32 v[vgprValuA_X1_I0+2], v[vgprValuA_X1_I0_D1+0], v[vgprValuA_X1_I0_D0+0], s[sgprPackKForV1] // select K=01 for vector=1
v_perm_b32 v[vgprValuA_X1_I0+3], v[vgprValuA_X1_I0_D3+0], v[vgprValuA_X1_I0_D2+0], s[sgprPackKForV1] // select K=23 for vector=1
v_mfma_f32_16x16x16_bf16 a[0+0:3+0], v[vgprValuB_X1_I0+0+0+0:vgprValuB_X1_I0+0+0+0+1], v[vgprValuA_X1_I0+0+0+0:vgprValuA_X1_I0+0+0+0+1], a[0:3]
/*  mfmaIndex:5  */
_ds_load_b32 v[vgprValuA_X2_I0_D2+0], v[vgprLocalReadAddrA] offset:4864 // L -> Reg lro=2048 swapByteOffset=0 ti=64 vIdx=0 rIdx=2 oIdx=0 buffer=2 iui=0
_ds_load_b32 v[vgprValuA_X2_I0_D3+0], v[vgprLocalReadAddrA] offset:4992 // L -> Reg lro=2048 swapByteOffset=0 ti=64 vIdx=0 rIdx=3 oIdx=0 buffer=2 iui=0
/* pack scheduling: packAIdx:4, packBIdx:2 */
v_perm_b32 v[vgprValuB_X1_I0+2], v[vgprValuB_X1_I0_D1+0], v[vgprValuB_X1_I0_D0+0], s[sgprPackKForV1] // select K=01 for vector=1
v_perm_b32 v[vgprValuB_X1_I0+3], v[vgprValuB_X1_I0_D3+0], v[vgprValuB_X1_I0_D2+0], s[sgprPackKForV1] // select K=23 for vector=1
v_mfma_f32_16x16x16_bf16 a[4+0:7+0], v[vgprValuB_X1_I0+0+0+0:vgprValuB_X1_I0+0+0+0+1], v[vgprValuA_X1_I0+2+0+0:vgprValuA_X1_I0+2+0+0+1], a[4:7]
/*  mfmaIndex:6  */
_ds_load_b32 v[vgprValuB_X2_I0_D0+0], v[vgprLocalReadAddrB] offset:4608 // L -> Reg lro=2048 swapByteOffset=0 ti=64 vIdx=0 rIdx=0 oIdx=0 buffer=2 iui=0
_ds_load_b32 v[vgprValuB_X2_I0_D1+0], v[vgprLocalReadAddrB] offset:4736 // L -> Reg lro=2048 swapByteOffset=0 ti=64 vIdx=0 rIdx=1 oIdx=0 buffer=2 iui=0
v_mfma_f32_16x16x16_bf16 a[12+0:15+0], v[vgprValuB_X1_I0+2+0+0:vgprValuB_X1_I0+2+0+0+1], v[vgprValuA_X1_I0+2+0+0:vgprValuA_X1_I0+2+0+0+1], a[12:15]
/*  mfmaIndex:7  */
_ds_load_b32 v[vgprValuB_X2_I0_D2+0], v[vgprLocalReadAddrB] offset:4864 // L -> Reg lro=2048 swapByteOffset=0 ti=64 vIdx=0 rIdx=2 oIdx=0 buffer=2 iui=0
_ds_load_b32 v[vgprValuB_X2_I0_D3+0], v[vgprLocalReadAddrB] offset:4992 // L -> Reg lro=2048 swapByteOffset=0 ti=64 vIdx=0 rIdx=3 oIdx=0 buffer=2 iui=0
v_mfma_f32_16x16x16_bf16 a[8+0:11+0], v[vgprValuB_X1_I0+2+0+0:vgprValuB_X1_I0+2+0+0+1], v[vgprValuA_X1_I0+0+0+0:vgprValuA_X1_I0+0+0+0+1], a[8:11]
/* numPrefetchIter=0 */
/* dataAtIterA=0 numReadsIterA=2 skipReadsIterA=1 readsPerIterA=4 */
/* dataAtIterB=0 numReadsIterB=2 skipReadsIterB=1 readsPerIterB=4 */


/* iter 2 (last unrolled loop) */

/*  grEndMfmaIndex:0, lwStartMfmaIndex:6, lwEndMfmaIndex:6  */
/*  numMfmaForLR:3, barrierMfmaIndex:12, LocalWritePerMfma:16.000 */
/*  mfmaIndex:8  */
_ds_load_b32 v[vgprValuA_X3_I0_D0+0], v[vgprLocalReadAddrA] offset:6912 // L -> Reg lro=3072 swapByteOffset=0 ti=64 vIdx=0 rIdx=0 oIdx=0 buffer=3 iui=0
_ds_load_b32 v[vgprValuA_X3_I0_D1+0], v[vgprLocalReadAddrA] offset:7040 // L -> Reg lro=3072 swapByteOffset=0 ti=64 vIdx=0 rIdx=1 oIdx=0 buffer=3 iui=0
s_waitcnt lgkmcnt(2)                               // lgkmcnt=0 vmcnt=-1wait for prior local read local write old=0, new=2 newLW=0 newLR=2
/* pack scheduling: packAIdx:2, packBIdx:2 */
v_perm_b32 v[vgprValuA_X2_I0+0], v[vgprValuA_X2_I0_D1+0], v[vgprValuA_X2_I0_D0+0], s[sgprPackKForV0] // select K=01 for vector=0
v_perm_b32 v[vgprValuA_X2_I0+1], v[vgprValuA_X2_I0_D3+0], v[vgprValuA_X2_I0_D2+0], s[sgprPackKForV0] // select K=23 for vector=0
v_perm_b32 v[vgprValuB_X2_I0+0], v[vgprValuB_X2_I0_D1+0], v[vgprValuB_X2_I0_D0+0], s[sgprPackKForV0] // select K=01 for vector=0
v_perm_b32 v[vgprValuB_X2_I0+1], v[vgprValuB_X2_I0_D3+0], v[vgprValuB_X2_I0_D2+0], s[sgprPackKForV0] // select K=23 for vector=0
v_perm_b32 v[vgprValuA_X2_I0+2], v[vgprValuA_X2_I0_D1+0], v[vgprValuA_X2_I0_D0+0], s[sgprPackKForV1] // select K=01 for vector=1
v_perm_b32 v[vgprValuA_X2_I0+3], v[vgprValuA_X2_I0_D3+0], v[vgprValuA_X2_I0_D2+0], s[sgprPackKForV1] // select K=23 for vector=1
v_mfma_f32_16x16x16_bf16 a[0+0:3+0], v[vgprValuB_X2_I0+0+0+0:vgprValuB_X2_I0+0+0+0+1], v[vgprValuA_X2_I0+0+0+0:vgprValuA_X2_I0+0+0+0+1], a[0:3]
/*  mfmaIndex:9  */
_ds_load_b32 v[vgprValuA_X3_I0_D2+0], v[vgprLocalReadAddrA] offset:7168 // L -> Reg lro=3072 swapByteOffset=0 ti=64 vIdx=0 rIdx=2 oIdx=0 buffer=3 iui=0
_ds_load_b32 v[vgprValuA_X3_I0_D3+0], v[vgprLocalReadAddrA] offset:7296 // L -> Reg lro=3072 swapByteOffset=0 ti=64 vIdx=0 rIdx=3 oIdx=0 buffer=3 iui=0
/* pack scheduling: packAIdx:4, packBIdx:2 */
v_perm_b32 v[vgprValuB_X2_I0+2], v[vgprValuB_X2_I0_D1+0], v[vgprValuB_X2_I0_D0+0], s[sgprPackKForV1] // select K=01 for vector=1
v_perm_b32 v[vgprValuB_X2_I0+3], v[vgprValuB_X2_I0_D3+0], v[vgprValuB_X2_I0_D2+0], s[sgprPackKForV1] // select K=23 for vector=1
v_mfma_f32_16x16x16_bf16 a[4+0:7+0], v[vgprValuB_X2_I0+0+0+0:vgprValuB_X2_I0+0+0+0+1], v[vgprValuA_X2_I0+2+0+0:vgprValuA_X2_I0+2+0+0+1], a[4:7]
/*  mfmaIndex:10  */
_ds_load_b32 v[vgprValuB_X3_I0_D0+0], v[vgprLocalReadAddrB] offset:6912 // L -> Reg lro=3072 swapByteOffset=0 ti=64 vIdx=0 rIdx=0 oIdx=0 buffer=3 iui=0
_ds_load_b32 v[vgprValuB_X3_I0_D1+0], v[vgprLocalReadAddrB] offset:7040 // L -> Reg lro=3072 swapByteOffset=0 ti=64 vIdx=0 rIdx=1 oIdx=0 buffer=3 iui=0
v_mfma_f32_16x16x16_bf16 a[12+0:15+0], v[vgprValuB_X2_I0+2+0+0:vgprValuB_X2_I0+2+0+0+1], v[vgprValuA_X2_I0+2+0+0:vgprValuA_X2_I0+2+0+0+1], a[12:15]
/*  mfmaIndex:11  */
_ds_load_b32 v[vgprValuB_X3_I0_D2+0], v[vgprLocalReadAddrB] offset:7168 // L -> Reg lro=3072 swapByteOffset=0 ti=64 vIdx=0 rIdx=2 oIdx=0 buffer=3 iui=0
_ds_load_b32 v[vgprValuB_X3_I0_D3+0], v[vgprLocalReadAddrB] offset:7296 // L -> Reg lro=3072 swapByteOffset=0 ti=64 vIdx=0 rIdx=3 oIdx=0 buffer=3 iui=0
v_mfma_f32_16x16x16_bf16 a[8+0:11+0], v[vgprValuB_X2_I0+2+0+0:vgprValuB_X2_I0+2+0+0+1], v[vgprValuA_X2_I0+0+0+0:vgprValuA_X2_I0+0+0+0+1], a[8:11]
/* numPrefetchIter=0 */
/* dataAtIterA=1 numReadsIterA=3 skipReadsIterA=1 readsPerIterA=4 */
/* dataAtIterB=1 numReadsIterB=3 skipReadsIterB=1 readsPerIterB=4 */


/* iter 3 (last unrolled loop) */

/*  grEndMfmaIndex:0, lwStartMfmaIndex:6, lwEndMfmaIndex:6  */
/*  numMfmaForLR:3, barrierMfmaIndex:12, LocalWritePerMfma:16.000 */
/*  mfmaIndex:12  */
s_waitcnt lgkmcnt(0)                               // lgkmcnt=0 vmcnt=-1wait for prior local read local write old=0, new=0 newLW=0 newLR=0
/* pack scheduling: packAIdx:2, packBIdx:2 */
v_perm_b32 v[vgprValuA_X3_I0+0], v[vgprValuA_X3_I0_D1+0], v[vgprValuA_X3_I0_D0+0], s[sgprPackKForV0] // select K=01 for vector=0
v_perm_b32 v[vgprValuA_X3_I0+1], v[vgprValuA_X3_I0_D3+0], v[vgprValuA_X3_I0_D2+0], s[sgprPackKForV0] // select K=23 for vector=0
v_perm_b32 v[vgprValuB_X3_I0+0], v[vgprValuB_X3_I0_D1+0], v[vgprValuB_X3_I0_D0+0], s[sgprPackKForV0] // select K=01 for vector=0
v_perm_b32 v[vgprValuB_X3_I0+1], v[vgprValuB_X3_I0_D3+0], v[vgprValuB_X3_I0_D2+0], s[sgprPackKForV0] // select K=23 for vector=0
v_perm_b32 v[vgprValuA_X3_I0+2], v[vgprValuA_X3_I0_D1+0], v[vgprValuA_X3_I0_D0+0], s[sgprPackKForV1] // select K=01 for vector=1
v_perm_b32 v[vgprValuA_X3_I0+3], v[vgprValuA_X3_I0_D3+0], v[vgprValuA_X3_I0_D2+0], s[sgprPackKForV1] // select K=23 for vector=1
v_mfma_f32_16x16x16_bf16 a[0+0:3+0], v[vgprValuB_X3_I0+0+0+0:vgprValuB_X3_I0+0+0+0+1], v[vgprValuA_X3_I0+0+0+0:vgprValuA_X3_I0+0+0+0+1], a[0:3]
/*  mfmaIndex:13  */
/* pack scheduling: packAIdx:4, packBIdx:2 */
v_perm_b32 v[vgprValuB_X3_I0+2], v[vgprValuB_X3_I0_D1+0], v[vgprValuB_X3_I0_D0+0], s[sgprPackKForV1] // select K=01 for vector=1
v_perm_b32 v[vgprValuB_X3_I0+3], v[vgprValuB_X3_I0_D3+0], v[vgprValuB_X3_I0_D2+0], s[sgprPackKForV1] // select K=23 for vector=1
v_mfma_f32_16x16x16_bf16 a[4+0:7+0], v[vgprValuB_X3_I0+0+0+0:vgprValuB_X3_I0+0+0+0+1], v[vgprValuA_X3_I0+2+0+0:vgprValuA_X3_I0+2+0+0+1], a[4:7]
/*  mfmaIndex:14  */
v_mfma_f32_16x16x16_bf16 a[12+0:15+0], v[vgprValuB_X3_I0+2+0+0:vgprValuB_X3_I0+2+0+0+1], v[vgprValuA_X3_I0+2+0+0:vgprValuA_X3_I0+2+0+0+1], a[12:15]
/*  mfmaIndex:15  */
v_mfma_f32_16x16x16_bf16 a[8+0:11+0], v[vgprValuB_X3_I0+2+0+0:vgprValuB_X3_I0+2+0+0+1], v[vgprValuA_X3_I0+0+0+0:vgprValuA_X3_I0+0+0+0+1], a[8:11]
/* numPrefetchIter=0 */
/* dataAtIterA=2 numReadsIterA=3 skipReadsIterA=0 readsPerIterA=4 */
/* dataAtIterB=2 numReadsIterB=3 skipReadsIterB=0 readsPerIterB=4 */

PrefetchGlobalLastIterEnd_5:


/******************************************/
/* Tail Loop                              */
/******************************************/


/* local write reset offsets a */


v_and_b32 v[vgprLocalWriteAddrA], 0xf07fff, v[vgprLocalWriteAddrA] // reset to Red


/* local write reset offsets b */


v_and_b32 v[vgprLocalWriteAddrB], 0xf07fff, v[vgprLocalWriteAddrB] // reset to Red


//numIterL = (((sizeL % LOCAL_DEPTHU) + LOCAL_SPLITU - 1) / LOCAL_SPLITU)
s_and_b32 s[sgprLoopCounterL], 63, s[sgprSizesSum+0] // s[sgprLoopCounterL] = s[sgprSizesSum+0] % 64
s_cmp_lg_u32 s[sgprGSUSumIdx], s[sgprGSUSumIdx+1]  // gsuSumIdx == numIterPerWgRemainder
s_cmov_b32 s[sgprLoopCounterL], 0x0                // numIter=0 if gsuSumIdx!=remainder
s_cmp_eq_u32 s[sgprLoopCounterL], 0x0              // numIterL == 0
s_cbranch_scc1 SkipTailLoopL_8                     // skip to end of tail loop b/c numIter==0
s_mov_b32 s[sgprOrigLoopCounter], 0                // repurpose to count each localRead increment


/* Update M0 for DTLDS */


	;; [unrolled: 1-line block ×3, first 2 shown]
/* global read a */

/* g2l=0, load component 0 */
_buffer_load_d16_b16 v[vgprG2LA+0+0], v[vgprGlobalReadOffsetA+0], s[sgprSrdA:sgprSrdA+3], 0, offen offset:0 // load one buffer value
/* g2l=0, load component 1 */
_buffer_load_d16_hi_b16 v77, v[vgprGlobalReadOffsetA+0], s[sgprSrdA:sgprSrdA+3], 0, offen offset:2 // load one buffer value
s_waitcnt vmcnt(0)
v_or_b32 v[vgprG2LA+0+0], v[vgprG2LA+0+0], v77 // HasEccHalf: pack
/* g2l=1, load component 0 */
_buffer_load_d16_b16 v[vgprG2LA+1+0], v[vgprGlobalReadOffsetA+1], s[sgprSrdA:sgprSrdA+3], 0, offen offset:0 // load one buffer value
/* g2l=1, load component 1 */
_buffer_load_d16_hi_b16 v77, v[vgprGlobalReadOffsetA+1], s[sgprSrdA:sgprSrdA+3], 0, offen offset:2 // load one buffer value
s_waitcnt vmcnt(0)
v_or_b32 v[vgprG2LA+1+0], v[vgprG2LA+1+0], v77 // HasEccHalf: pack
	;; [unrolled: 6-line block ×8, first 2 shown]


/* Update M0 for DTLDS */


	;; [unrolled: 1-line block ×3, first 2 shown]
/* global read b */

/* g2l=0, load component 0 */
_buffer_load_d16_b16 v[vgprG2LB+0+0], v[vgprGlobalReadOffsetB+0], s[sgprSrdB:sgprSrdB+3], 0, offen offset:0 // load one buffer value
/* g2l=0, load component 1 */
_buffer_load_d16_hi_b16 v77, v[vgprGlobalReadOffsetB+0], s[sgprSrdB:sgprSrdB+3], 0, offen offset:2 // load one buffer value
s_waitcnt vmcnt(0)
v_or_b32 v[vgprG2LB+0+0], v[vgprG2LB+0+0], v77 // HasEccHalf: pack
/* g2l=1, load component 0 */
_buffer_load_d16_b16 v[vgprG2LB+1+0], v[vgprGlobalReadOffsetB+1], s[sgprSrdB:sgprSrdB+3], 0, offen offset:0 // load one buffer value
/* g2l=1, load component 1 */
_buffer_load_d16_hi_b16 v77, v[vgprGlobalReadOffsetB+1], s[sgprSrdB:sgprSrdB+3], 0, offen offset:2 // load one buffer value
s_waitcnt vmcnt(0)
v_or_b32 v[vgprG2LB+1+0], v[vgprG2LB+1+0], v77 // HasEccHalf: pack
	;; [unrolled: 6-line block ×8, first 2 shown]

s_waitcnt vmcnt(0)                                 // lgkmcnt=-1 vmcnt=02wait for global read

// Skip force waitcnt0
s_barrier //


/* Done global A/B reads */


	;; [unrolled: 1-line block ×4, first 2 shown]
/* local write a */

_ds_store_b32 v[vgprLocalWriteAddrA], v[vgprG2LA+0] offset:0 // lwoA_0_0_0_0 = (0*LSCA) + (0*LSPA)(*MT0I+PAD) = 0
_ds_store_b32 v[vgprLocalWriteAddrA], v[vgprG2LA+1] offset:256 // lwoA_0_0_1_0 = (0*LSCA) + (1*LSPA)(*MT0I+PAD) = 256
_ds_store_b32 v[vgprLocalWriteAddrA], v[vgprG2LA+2] offset:576 // lwoA_0_0_2_0 = (0*LSCA) + (2*LSPA)(*MT0I+PAD) = 576
_ds_store_b32 v[vgprLocalWriteAddrA], v[vgprG2LA+3] offset:832 // lwoA_0_0_3_0 = (0*LSCA) + (3*LSPA)(*MT0I+PAD) = 832
_ds_store_b32 v[vgprLocalWriteAddrA], v[vgprG2LA+4] offset:1152 // lwoA_0_0_4_0 = (0*LSCA) + (4*LSPA)(*MT0I+PAD) = 1152
_ds_store_b32 v[vgprLocalWriteAddrA], v[vgprG2LA+5] offset:1408 // lwoA_0_0_5_0 = (0*LSCA) + (5*LSPA)(*MT0I+PAD) = 1408
_ds_store_b32 v[vgprLocalWriteAddrA], v[vgprG2LA+6] offset:1728 // lwoA_0_0_6_0 = (0*LSCA) + (6*LSPA)(*MT0I+PAD) = 1728
_ds_store_b32 v[vgprLocalWriteAddrA], v[vgprG2LA+7] offset:1984 // lwoA_0_0_7_0 = (0*LSCA) + (7*LSPA)(*MT0I+PAD) = 1984


/* local write b */

_ds_store_b32 v[vgprLocalWriteAddrB], v[vgprG2LB+0] offset:0 // lwoB_0_0_0_0 = (0*LSCB) + (0*LSPB)(*MT1J+PAD) = 0
_ds_store_b32 v[vgprLocalWriteAddrB], v[vgprG2LB+1] offset:1152 // lwoB_0_0_1_0 = (0*LSCB) + (1*LSPB)(*MT1J+PAD) = 1152
_ds_store_b32 v[vgprLocalWriteAddrB], v[vgprG2LB+2] offset:2304 // lwoB_0_0_2_0 = (0*LSCB) + (2*LSPB)(*MT1J+PAD) = 2304
_ds_store_b32 v[vgprLocalWriteAddrB], v[vgprG2LB+3] offset:3456 // lwoB_0_0_3_0 = (0*LSCB) + (3*LSPB)(*MT1J+PAD) = 3456
_ds_store_b32 v[vgprLocalWriteAddrB], v[vgprG2LB+4] offset:4608 // lwoB_0_0_4_0 = (0*LSCB) + (4*LSPB)(*MT1J+PAD) = 4608
_ds_store_b32 v[vgprLocalWriteAddrB], v[vgprG2LB+5] offset:5760 // lwoB_0_0_5_0 = (0*LSCB) + (5*LSPB)(*MT1J+PAD) = 5760
_ds_store_b32 v[vgprLocalWriteAddrB], v[vgprG2LB+6] offset:6912 // lwoB_0_0_6_0 = (0*LSCB) + (6*LSPB)(*MT1J+PAD) = 6912
_ds_store_b32 v[vgprLocalWriteAddrB], v[vgprG2LB+7] offset:8064 // lwoB_0_0_7_0 = (0*LSCB) + (7*LSPB)(*MT1J+PAD) = 8064


/* Recalc local read offsets */


s_waitcnt lgkmcnt(0)                               // lgkmcnt=0 vmcnt=-15wait for local write

// Skip force waitcnt0
s_barrier //


/* local read reset offsets a */


/* localReadResetOffsets */
/* handled internally */
v_and_b32 v[vgprLocalReadAddrA], 0x7fff, v[vgprLocalReadAddrA] // reset Red,Blk -> Red


/* local read reset offsets b */


/* localReadResetOffsets */
/* handled internally */
v_and_b32 v[vgprLocalReadAddrB], 0x7fff, v[vgprLocalReadAddrB] // reset Red,Blk -> Red


/* local read init pointers a */


/* localReadInitPointers */


/* local read init pointers b */


/* localReadInitPointers */


/* tail loop: macs */

TailLoopBeginL_6:


/* tail loop unroll iter 0 */


/* local read a */

_ds_load_b32 v[vgprValuA_X0_I0_D0+0], v[vgprLocalReadAddrA] offset:0 // L -> Reg lro=0 swapByteOffset=0 ti=64 vIdx=0 rIdx=0 oIdx=0 buffer=0 iui=0
_ds_load_b32 v[vgprValuA_X0_I0_D1+0], v[vgprLocalReadAddrA] offset:128 // L -> Reg lro=0 swapByteOffset=0 ti=64 vIdx=0 rIdx=1 oIdx=0 buffer=0 iui=0
_ds_load_b32 v[vgprValuA_X0_I0_D2+0], v[vgprLocalReadAddrA] offset:256 // L -> Reg lro=0 swapByteOffset=0 ti=64 vIdx=0 rIdx=2 oIdx=0 buffer=0 iui=0
_ds_load_b32 v[vgprValuA_X0_I0_D3+0], v[vgprLocalReadAddrA] offset:384 // L -> Reg lro=0 swapByteOffset=0 ti=64 vIdx=0 rIdx=3 oIdx=0 buffer=0 iui=0


/* local read b */

_ds_load_b32 v[vgprValuB_X0_I0_D0+0], v[vgprLocalReadAddrB] offset:0 // L -> Reg lro=0 swapByteOffset=0 ti=64 vIdx=0 rIdx=0 oIdx=0 buffer=0 iui=0
_ds_load_b32 v[vgprValuB_X0_I0_D1+0], v[vgprLocalReadAddrB] offset:128 // L -> Reg lro=0 swapByteOffset=0 ti=64 vIdx=0 rIdx=1 oIdx=0 buffer=0 iui=0
_ds_load_b32 v[vgprValuB_X0_I0_D2+0], v[vgprLocalReadAddrB] offset:256 // L -> Reg lro=0 swapByteOffset=0 ti=64 vIdx=0 rIdx=2 oIdx=0 buffer=0 iui=0
_ds_load_b32 v[vgprValuB_X0_I0_D3+0], v[vgprLocalReadAddrB] offset:384 // L -> Reg lro=0 swapByteOffset=0 ti=64 vIdx=0 rIdx=3 oIdx=0 buffer=0 iui=0


/* local read inc a */

s_mov_b32 s10, 0x900                               // inc
_v_add_co_u32 v[vgprLocalReadAddrA], vcc, s10, v[vgprLocalReadAddrA] // lrA += 2304 (LSU*(MT+PAD)*bpe)


/* local read inc b */

s_mov_b32 s10, 0x900                               // inc
_v_add_co_u32 v[vgprLocalReadAddrB], vcc, s10, v[vgprLocalReadAddrB] // lrB += 2304 (LSU*(MT+PAD)*bpe)

s_waitcnt lgkmcnt(0)                               // lgkmcnt=0 vmcnt=-14wait for local read

v_perm_b32 v[vgprValuA_X0_I0+0], v[vgprValuA_X0_I0_D1+0], v[vgprValuA_X0_I0_D0+0], s[sgprPackKForV0] // select K=01 for vector=0
v_perm_b32 v[vgprValuA_X0_I0+1], v[vgprValuA_X0_I0_D3+0], v[vgprValuA_X0_I0_D2+0], s[sgprPackKForV0] // select K=23 for vector=0
v_perm_b32 v[vgprValuA_X0_I0+2], v[vgprValuA_X0_I0_D1+0], v[vgprValuA_X0_I0_D0+0], s[sgprPackKForV1] // select K=01 for vector=1
v_perm_b32 v[vgprValuA_X0_I0+3], v[vgprValuA_X0_I0_D3+0], v[vgprValuA_X0_I0_D2+0], s[sgprPackKForV1] // select K=23 for vector=1
v_perm_b32 v[vgprValuB_X0_I0+0], v[vgprValuB_X0_I0_D1+0], v[vgprValuB_X0_I0_D0+0], s[sgprPackKForV0] // select K=01 for vector=0
v_perm_b32 v[vgprValuB_X0_I0+1], v[vgprValuB_X0_I0_D3+0], v[vgprValuB_X0_I0_D2+0], s[sgprPackKForV0] // select K=23 for vector=0
v_perm_b32 v[vgprValuB_X0_I0+2], v[vgprValuB_X0_I0_D1+0], v[vgprValuB_X0_I0_D0+0], s[sgprPackKForV1] // select K=01 for vector=1
v_perm_b32 v[vgprValuB_X0_I0+3], v[vgprValuB_X0_I0_D3+0], v[vgprValuB_X0_I0_D2+0], s[sgprPackKForV1] // select K=23 for vector=1

s_nop 1
v_mfma_f32_16x16x16_bf16 a[0+0:3+0], v[vgprValuB_X0_I0+0+0+0:vgprValuB_X0_I0+0+0+0+1], v[vgprValuA_X0_I0+0+0+0:vgprValuA_X0_I0+0+0+0+1], a[0:3]
v_mfma_f32_16x16x16_bf16 a[4+0:7+0], v[vgprValuB_X0_I0+0+0+0:vgprValuB_X0_I0+0+0+0+1], v[vgprValuA_X0_I0+2+0+0:vgprValuA_X0_I0+2+0+0+1], a[4:7]
	;; [unrolled: 1-line block ×4, first 2 shown]


/* closeLoop loopL finalLoop=0 tailLoop=1 */
s_sub_i32 s[sgprLoopCounterL], s[sgprLoopCounterL], 0x10 // dec counterL (tailLoop)
s_add_u32 s[sgprOrigLoopCounter], s[sgprOrigLoopCounter], 0x10 // inc counterL
s_cmp_le_i32 s[sgprLoopCounterL], 0x0              // counterL<=0
s_cbranch_scc1 TailLoopEndL_7                      // exit LoopL


/* tail loop unroll iter 1 */


/* local read a */

_ds_load_b32 v[vgprValuA_X1_I0_D0+0], v[vgprLocalReadAddrA] offset:0 // L -> Reg lro=0 swapByteOffset=0 ti=64 vIdx=0 rIdx=0 oIdx=0 buffer=1 iui=0
_ds_load_b32 v[vgprValuA_X1_I0_D1+0], v[vgprLocalReadAddrA] offset:128 // L -> Reg lro=0 swapByteOffset=0 ti=64 vIdx=0 rIdx=1 oIdx=0 buffer=1 iui=0
_ds_load_b32 v[vgprValuA_X1_I0_D2+0], v[vgprLocalReadAddrA] offset:256 // L -> Reg lro=0 swapByteOffset=0 ti=64 vIdx=0 rIdx=2 oIdx=0 buffer=1 iui=0
_ds_load_b32 v[vgprValuA_X1_I0_D3+0], v[vgprLocalReadAddrA] offset:384 // L -> Reg lro=0 swapByteOffset=0 ti=64 vIdx=0 rIdx=3 oIdx=0 buffer=1 iui=0


/* local read b */

_ds_load_b32 v[vgprValuB_X1_I0_D0+0], v[vgprLocalReadAddrB] offset:0 // L -> Reg lro=0 swapByteOffset=0 ti=64 vIdx=0 rIdx=0 oIdx=0 buffer=1 iui=0
_ds_load_b32 v[vgprValuB_X1_I0_D1+0], v[vgprLocalReadAddrB] offset:128 // L -> Reg lro=0 swapByteOffset=0 ti=64 vIdx=0 rIdx=1 oIdx=0 buffer=1 iui=0
_ds_load_b32 v[vgprValuB_X1_I0_D2+0], v[vgprLocalReadAddrB] offset:256 // L -> Reg lro=0 swapByteOffset=0 ti=64 vIdx=0 rIdx=2 oIdx=0 buffer=1 iui=0
_ds_load_b32 v[vgprValuB_X1_I0_D3+0], v[vgprLocalReadAddrB] offset:384 // L -> Reg lro=0 swapByteOffset=0 ti=64 vIdx=0 rIdx=3 oIdx=0 buffer=1 iui=0


/* local read inc a */

s_mov_b32 s10, 0x900                               // inc
_v_add_co_u32 v[vgprLocalReadAddrA], vcc, s10, v[vgprLocalReadAddrA] // lrA += 2304 (LSU*(MT+PAD)*bpe)


/* local read inc b */

s_mov_b32 s10, 0x900                               // inc
_v_add_co_u32 v[vgprLocalReadAddrB], vcc, s10, v[vgprLocalReadAddrB] // lrB += 2304 (LSU*(MT+PAD)*bpe)

s_waitcnt lgkmcnt(0)                               // lgkmcnt=0 vmcnt=-14wait for local read

v_perm_b32 v[vgprValuA_X1_I0+0], v[vgprValuA_X1_I0_D1+0], v[vgprValuA_X1_I0_D0+0], s[sgprPackKForV0] // select K=01 for vector=0
v_perm_b32 v[vgprValuA_X1_I0+1], v[vgprValuA_X1_I0_D3+0], v[vgprValuA_X1_I0_D2+0], s[sgprPackKForV0] // select K=23 for vector=0
v_perm_b32 v[vgprValuA_X1_I0+2], v[vgprValuA_X1_I0_D1+0], v[vgprValuA_X1_I0_D0+0], s[sgprPackKForV1] // select K=01 for vector=1
v_perm_b32 v[vgprValuA_X1_I0+3], v[vgprValuA_X1_I0_D3+0], v[vgprValuA_X1_I0_D2+0], s[sgprPackKForV1] // select K=23 for vector=1
v_perm_b32 v[vgprValuB_X1_I0+0], v[vgprValuB_X1_I0_D1+0], v[vgprValuB_X1_I0_D0+0], s[sgprPackKForV0] // select K=01 for vector=0
v_perm_b32 v[vgprValuB_X1_I0+1], v[vgprValuB_X1_I0_D3+0], v[vgprValuB_X1_I0_D2+0], s[sgprPackKForV0] // select K=23 for vector=0
v_perm_b32 v[vgprValuB_X1_I0+2], v[vgprValuB_X1_I0_D1+0], v[vgprValuB_X1_I0_D0+0], s[sgprPackKForV1] // select K=01 for vector=1
v_perm_b32 v[vgprValuB_X1_I0+3], v[vgprValuB_X1_I0_D3+0], v[vgprValuB_X1_I0_D2+0], s[sgprPackKForV1] // select K=23 for vector=1

s_nop 1
v_mfma_f32_16x16x16_bf16 a[0+0:3+0], v[vgprValuB_X1_I0+0+0+0:vgprValuB_X1_I0+0+0+0+1], v[vgprValuA_X1_I0+0+0+0:vgprValuA_X1_I0+0+0+0+1], a[0:3]
v_mfma_f32_16x16x16_bf16 a[4+0:7+0], v[vgprValuB_X1_I0+0+0+0:vgprValuB_X1_I0+0+0+0+1], v[vgprValuA_X1_I0+2+0+0:vgprValuA_X1_I0+2+0+0+1], a[4:7]
	;; [unrolled: 1-line block ×4, first 2 shown]


/* closeLoop loopL finalLoop=0 tailLoop=1 */
s_sub_i32 s[sgprLoopCounterL], s[sgprLoopCounterL], 0x10 // dec counterL (tailLoop)
s_add_u32 s[sgprOrigLoopCounter], s[sgprOrigLoopCounter], 0x10 // inc counterL
s_cmp_le_i32 s[sgprLoopCounterL], 0x0              // counterL<=0
s_cbranch_scc1 TailLoopEndL_7                      // exit LoopL


/* tail loop unroll iter 2 */


/* local read a */

_ds_load_b32 v[vgprValuA_X2_I0_D0+0], v[vgprLocalReadAddrA] offset:0 // L -> Reg lro=0 swapByteOffset=0 ti=64 vIdx=0 rIdx=0 oIdx=0 buffer=2 iui=0
_ds_load_b32 v[vgprValuA_X2_I0_D1+0], v[vgprLocalReadAddrA] offset:128 // L -> Reg lro=0 swapByteOffset=0 ti=64 vIdx=0 rIdx=1 oIdx=0 buffer=2 iui=0
_ds_load_b32 v[vgprValuA_X2_I0_D2+0], v[vgprLocalReadAddrA] offset:256 // L -> Reg lro=0 swapByteOffset=0 ti=64 vIdx=0 rIdx=2 oIdx=0 buffer=2 iui=0
_ds_load_b32 v[vgprValuA_X2_I0_D3+0], v[vgprLocalReadAddrA] offset:384 // L -> Reg lro=0 swapByteOffset=0 ti=64 vIdx=0 rIdx=3 oIdx=0 buffer=2 iui=0


/* local read b */

_ds_load_b32 v[vgprValuB_X2_I0_D0+0], v[vgprLocalReadAddrB] offset:0 // L -> Reg lro=0 swapByteOffset=0 ti=64 vIdx=0 rIdx=0 oIdx=0 buffer=2 iui=0
_ds_load_b32 v[vgprValuB_X2_I0_D1+0], v[vgprLocalReadAddrB] offset:128 // L -> Reg lro=0 swapByteOffset=0 ti=64 vIdx=0 rIdx=1 oIdx=0 buffer=2 iui=0
_ds_load_b32 v[vgprValuB_X2_I0_D2+0], v[vgprLocalReadAddrB] offset:256 // L -> Reg lro=0 swapByteOffset=0 ti=64 vIdx=0 rIdx=2 oIdx=0 buffer=2 iui=0
_ds_load_b32 v[vgprValuB_X2_I0_D3+0], v[vgprLocalReadAddrB] offset:384 // L -> Reg lro=0 swapByteOffset=0 ti=64 vIdx=0 rIdx=3 oIdx=0 buffer=2 iui=0


/* local read inc a */

s_mov_b32 s10, 0x900                               // inc
_v_add_co_u32 v[vgprLocalReadAddrA], vcc, s10, v[vgprLocalReadAddrA] // lrA += 2304 (LSU*(MT+PAD)*bpe)


/* local read inc b */

s_mov_b32 s10, 0x900                               // inc
_v_add_co_u32 v[vgprLocalReadAddrB], vcc, s10, v[vgprLocalReadAddrB] // lrB += 2304 (LSU*(MT+PAD)*bpe)

s_waitcnt lgkmcnt(0)                               // lgkmcnt=0 vmcnt=-14wait for local read

v_perm_b32 v[vgprValuA_X2_I0+0], v[vgprValuA_X2_I0_D1+0], v[vgprValuA_X2_I0_D0+0], s[sgprPackKForV0] // select K=01 for vector=0
v_perm_b32 v[vgprValuA_X2_I0+1], v[vgprValuA_X2_I0_D3+0], v[vgprValuA_X2_I0_D2+0], s[sgprPackKForV0] // select K=23 for vector=0
v_perm_b32 v[vgprValuA_X2_I0+2], v[vgprValuA_X2_I0_D1+0], v[vgprValuA_X2_I0_D0+0], s[sgprPackKForV1] // select K=01 for vector=1
v_perm_b32 v[vgprValuA_X2_I0+3], v[vgprValuA_X2_I0_D3+0], v[vgprValuA_X2_I0_D2+0], s[sgprPackKForV1] // select K=23 for vector=1
v_perm_b32 v[vgprValuB_X2_I0+0], v[vgprValuB_X2_I0_D1+0], v[vgprValuB_X2_I0_D0+0], s[sgprPackKForV0] // select K=01 for vector=0
v_perm_b32 v[vgprValuB_X2_I0+1], v[vgprValuB_X2_I0_D3+0], v[vgprValuB_X2_I0_D2+0], s[sgprPackKForV0] // select K=23 for vector=0
v_perm_b32 v[vgprValuB_X2_I0+2], v[vgprValuB_X2_I0_D1+0], v[vgprValuB_X2_I0_D0+0], s[sgprPackKForV1] // select K=01 for vector=1
v_perm_b32 v[vgprValuB_X2_I0+3], v[vgprValuB_X2_I0_D3+0], v[vgprValuB_X2_I0_D2+0], s[sgprPackKForV1] // select K=23 for vector=1

s_nop 1
v_mfma_f32_16x16x16_bf16 a[0+0:3+0], v[vgprValuB_X2_I0+0+0+0:vgprValuB_X2_I0+0+0+0+1], v[vgprValuA_X2_I0+0+0+0:vgprValuA_X2_I0+0+0+0+1], a[0:3]
v_mfma_f32_16x16x16_bf16 a[4+0:7+0], v[vgprValuB_X2_I0+0+0+0:vgprValuB_X2_I0+0+0+0+1], v[vgprValuA_X2_I0+2+0+0:vgprValuA_X2_I0+2+0+0+1], a[4:7]
	;; [unrolled: 1-line block ×4, first 2 shown]


/* closeLoop loopL finalLoop=0 tailLoop=1 */
s_sub_i32 s[sgprLoopCounterL], s[sgprLoopCounterL], 0x10 // dec counterL (tailLoop)
s_add_u32 s[sgprOrigLoopCounter], s[sgprOrigLoopCounter], 0x10 // inc counterL
s_cmp_le_i32 s[sgprLoopCounterL], 0x0              // counterL<=0
s_cbranch_scc1 TailLoopEndL_7                      // exit LoopL


/* tail loop unroll iter 3 */


/* local read a */

_ds_load_b32 v[vgprValuA_X3_I0_D0+0], v[vgprLocalReadAddrA] offset:0 // L -> Reg lro=0 swapByteOffset=0 ti=64 vIdx=0 rIdx=0 oIdx=0 buffer=3 iui=0
_ds_load_b32 v[vgprValuA_X3_I0_D1+0], v[vgprLocalReadAddrA] offset:128 // L -> Reg lro=0 swapByteOffset=0 ti=64 vIdx=0 rIdx=1 oIdx=0 buffer=3 iui=0
_ds_load_b32 v[vgprValuA_X3_I0_D2+0], v[vgprLocalReadAddrA] offset:256 // L -> Reg lro=0 swapByteOffset=0 ti=64 vIdx=0 rIdx=2 oIdx=0 buffer=3 iui=0
_ds_load_b32 v[vgprValuA_X3_I0_D3+0], v[vgprLocalReadAddrA] offset:384 // L -> Reg lro=0 swapByteOffset=0 ti=64 vIdx=0 rIdx=3 oIdx=0 buffer=3 iui=0


/* local read b */

_ds_load_b32 v[vgprValuB_X3_I0_D0+0], v[vgprLocalReadAddrB] offset:0 // L -> Reg lro=0 swapByteOffset=0 ti=64 vIdx=0 rIdx=0 oIdx=0 buffer=3 iui=0
_ds_load_b32 v[vgprValuB_X3_I0_D1+0], v[vgprLocalReadAddrB] offset:128 // L -> Reg lro=0 swapByteOffset=0 ti=64 vIdx=0 rIdx=1 oIdx=0 buffer=3 iui=0
_ds_load_b32 v[vgprValuB_X3_I0_D2+0], v[vgprLocalReadAddrB] offset:256 // L -> Reg lro=0 swapByteOffset=0 ti=64 vIdx=0 rIdx=2 oIdx=0 buffer=3 iui=0
_ds_load_b32 v[vgprValuB_X3_I0_D3+0], v[vgprLocalReadAddrB] offset:384 // L -> Reg lro=0 swapByteOffset=0 ti=64 vIdx=0 rIdx=3 oIdx=0 buffer=3 iui=0


/* local read inc a */

s_mov_b32 s10, 0x900                               // inc
_v_add_co_u32 v[vgprLocalReadAddrA], vcc, s10, v[vgprLocalReadAddrA] // lrA += 2304 (LSU*(MT+PAD)*bpe)


/* local read inc b */

s_mov_b32 s10, 0x900                               // inc
_v_add_co_u32 v[vgprLocalReadAddrB], vcc, s10, v[vgprLocalReadAddrB] // lrB += 2304 (LSU*(MT+PAD)*bpe)

s_waitcnt lgkmcnt(0)                               // lgkmcnt=0 vmcnt=-14wait for local read

v_perm_b32 v[vgprValuA_X3_I0+0], v[vgprValuA_X3_I0_D1+0], v[vgprValuA_X3_I0_D0+0], s[sgprPackKForV0] // select K=01 for vector=0
v_perm_b32 v[vgprValuA_X3_I0+1], v[vgprValuA_X3_I0_D3+0], v[vgprValuA_X3_I0_D2+0], s[sgprPackKForV0] // select K=23 for vector=0
v_perm_b32 v[vgprValuA_X3_I0+2], v[vgprValuA_X3_I0_D1+0], v[vgprValuA_X3_I0_D0+0], s[sgprPackKForV1] // select K=01 for vector=1
v_perm_b32 v[vgprValuA_X3_I0+3], v[vgprValuA_X3_I0_D3+0], v[vgprValuA_X3_I0_D2+0], s[sgprPackKForV1] // select K=23 for vector=1
v_perm_b32 v[vgprValuB_X3_I0+0], v[vgprValuB_X3_I0_D1+0], v[vgprValuB_X3_I0_D0+0], s[sgprPackKForV0] // select K=01 for vector=0
v_perm_b32 v[vgprValuB_X3_I0+1], v[vgprValuB_X3_I0_D3+0], v[vgprValuB_X3_I0_D2+0], s[sgprPackKForV0] // select K=23 for vector=0
v_perm_b32 v[vgprValuB_X3_I0+2], v[vgprValuB_X3_I0_D1+0], v[vgprValuB_X3_I0_D0+0], s[sgprPackKForV1] // select K=01 for vector=1
v_perm_b32 v[vgprValuB_X3_I0+3], v[vgprValuB_X3_I0_D3+0], v[vgprValuB_X3_I0_D2+0], s[sgprPackKForV1] // select K=23 for vector=1

s_nop 1
v_mfma_f32_16x16x16_bf16 a[0+0:3+0], v[vgprValuB_X3_I0+0+0+0:vgprValuB_X3_I0+0+0+0+1], v[vgprValuA_X3_I0+0+0+0:vgprValuA_X3_I0+0+0+0+1], a[0:3]
v_mfma_f32_16x16x16_bf16 a[4+0:7+0], v[vgprValuB_X3_I0+0+0+0:vgprValuB_X3_I0+0+0+0+1], v[vgprValuA_X3_I0+2+0+0:vgprValuA_X3_I0+2+0+0+1], a[4:7]
	;; [unrolled: 1-line block ×4, first 2 shown]


/* closeLoop loopL finalLoop=1 tailLoop=1 */
s_sub_i32 s[sgprLoopCounterL], s[sgprLoopCounterL], 0x10 // dec counterL (tailLoop)
s_add_u32 s[sgprOrigLoopCounter], s[sgprOrigLoopCounter], 0x10 // inc counterL
s_cmp_le_i32 s[sgprLoopCounterL], 0x0              // counterL<=0
s_cbranch_scc0 TailLoopBeginL_6                    // restart LoopL
TailLoopEndL_7:

SkipTailLoopL_8:

Summation_End_19:
/* endSummation: add vgpr [0...74) to pool */
.set NumFullBlocks, UNDEF
.set WgmRemainder1, UNDEF
.set MagicNumberWgmRemainder1, UNDEF

/* Mapping of Acc register -> C Vgpr register */


/* shift vector components d0 */

v_mov_b32 v1, s[sgprWorkGroup0]                    // 
v_mul_i32_i24 v1, -0x40, v1                        // wg*MT
_v_add_co_u32 v1, vcc, s[sgprSizesFree+0], v1      // wgMT = Size - wg*MT
v_mov_b32 v2, 0x40                                 // MT
v_min_u32 v1, v2, v1                               // wgMT = (wgMT < MT) ? wgMT : MT
v_lshrrev_b32 v0, 6, v[vgprSerial]                 // v0 = v[vgprSerial] / 64
v_and_b32 v3, 1, v0                                // v3 = v0 % 2
v_lshrrev_b32 v0, 5, v1                            // v0 = v1 / 32
v_and_b32 v4, 1, v0                                // v4 = v0 % 2
v_cmp_eq_u32 s[10:11], v4, v3                      // wave_id == block_belong_to_wave?
v_cndmask_b32 v1, v2, v1, s[10:11]                 // wgMT = (wgMT < MT) ? wgMT : MT

/* mbReg: which mb block need to shift, mb(matrixInstCoal(16) * VectorWidth(2)) */
v_lshrrev_b32 v2, 5, v1                            // v2 = v1 / 32
v_lshlrev_b32 v4, 0x0, v3                          // v4 = v3 * 1
_v_sub_u32 v2, v2, v4                              // 

/* gbReg: glvw block id */
v_lshrrev_b32 v4, 1, v1                            // v4 = v1 / 2

/* tgbReg: glvw block id */
v_lshrrev_b32 v0, 0, v[vgprSerial]                 // v0 = v[vgprSerial] / 1
v_and_b32 v5, 15, v0                               // v5 = v0 % 16
v_lshlrev_b32 v5, 0x1, v5                          // v5 = v5 * 2
v_lshrrev_b32 v5, 1, v5                            // v5 = v5 / 2
v_lshlrev_b32 v3, 0x4, v3                          // v3 = v3 * 16
_v_add_co_u32 v5, vcc, v3, v5                      // tgbReg = (tid_coal * continOut) / GLVW
_v_sub_u32 v4, v4, v5                              // 

/* vwReg: glvw in which vw block? */
v_and_b32 v3, 1, v1                                // permute register between threads
v_lshrrev_b32 v3, 1, v3                            // permute register between threads

/* rReg : reminder of M_size % GlobalLoadVectorWidth */
v_and_b32 v5, 1, v1                                // v5 = v1 % 2
v_cmp_eq_u32 vcc, v5, 0x1                          // wgMT%VW == 1
s_cbranch_vccnz label_0020                         // branch to shift d0 r=1
s_branch label_0023                                // no shifting

/******************************************/
/* shift d0 r=1                           */
/******************************************/
label_0020:
v_cmp_eq_u32 vcc, v2, 0x0                          // 
s_cbranch_vccnz label_0021                         // branch to shift d0 r1 mb0

/******************************************/
/* shift d0 r=1 mb=0                      */
/******************************************/
label_0021: // r1 mb0 
v_cmp_eq_u32 vcc, v3, 0x0                          // 
s_cbranch_vccnz label_0022                         // branch to shift d0 r1 mb0 vw0

/******************************************/
/* shift d0 r=1 mb=0 vw0                  */
/******************************************/
label_0022: // r1 mb0 vw0 
s_mov_b32 s10, 0                                   // 
_v_cmpx_eq_u32 s[10:11], v4, s10                   // is thread in edge glvw region
v_and_b32 v0, 63, v[vgprSerial]                    // permute register between threads
v_lshlrev_b32 v0, 2, v0                            // permute register between threads
v_accvgpr_read_b32 v5, acc4                        // glvw 1 mb 0 tt1 0 r 0
s_nop 1                                            // v_accvgpr read vgpr after write vgpr: 2 wait states
v_accvgpr_write_b32 acc0, v5                       // 
v_accvgpr_read_b32 v5, acc12                       // glvw 1 mb 0 tt1 1 r 0
s_nop 1                                            // v_accvgpr read vgpr after write vgpr: 2 wait states
v_accvgpr_write_b32 acc8, v5                       // 
v_accvgpr_read_b32 v5, acc5                        // glvw 1 mb 0 tt1 2 r 0
s_nop 1                                            // v_accvgpr read vgpr after write vgpr: 2 wait states
v_accvgpr_write_b32 acc1, v5                       // 
v_accvgpr_read_b32 v5, acc13                       // glvw 1 mb 0 tt1 3 r 0
s_nop 1                                            // v_accvgpr read vgpr after write vgpr: 2 wait states
v_accvgpr_write_b32 acc9, v5                       // 
v_accvgpr_read_b32 v5, acc6                        // glvw 1 mb 0 tt1 4 r 0
s_nop 1                                            // v_accvgpr read vgpr after write vgpr: 2 wait states
v_accvgpr_write_b32 acc2, v5                       // 
v_accvgpr_read_b32 v5, acc14                       // glvw 1 mb 0 tt1 5 r 0
s_nop 1                                            // v_accvgpr read vgpr after write vgpr: 2 wait states
v_accvgpr_write_b32 acc10, v5                      // 
v_accvgpr_read_b32 v5, acc7                        // glvw 1 mb 0 tt1 6 r 0
s_nop 1                                            // v_accvgpr read vgpr after write vgpr: 2 wait states
v_accvgpr_write_b32 acc3, v5                       // 
v_accvgpr_read_b32 v5, acc15                       // glvw 1 mb 0 tt1 7 r 0
s_nop 1                                            // v_accvgpr read vgpr after write vgpr: 2 wait states
v_accvgpr_write_b32 acc11, v5                      // 
s_mov_b64 s[10:11], 0xFFFFFFFFFFFFFFFF             // to restore all threads active
s_or_saveexec_b64 vcc, s[10:11]                    // all threads active
s_branch label_0023                                // done shifting

label_0023: // end shift0


/* shift vector components d1 */

v_mov_b32 v1, s[sgprWorkGroup1]                    // 
v_mul_i32_i24 v1, -0x40, v1                        // wg*MT
_v_add_co_u32 v1, vcc, s[sgprSizesFree+1], v1      // wgMT = Size - wg*MT
v_mov_b32 v2, 0x40                                 // MT
v_min_u32 v1, v2, v1                               // wgMT = (wgMT < MT) ? wgMT : MT
v_lshrrev_b32 v0, 7, v[vgprSerial]                 // v0 = v[vgprSerial] / 128
v_and_b32 v3, 1, v0                                // v3 = v0 % 2
v_lshrrev_b32 v0, 5, v1                            // v0 = v1 / 32
v_and_b32 v4, 1, v0                                // v4 = v0 % 2
v_cmp_eq_u32 s[10:11], v4, v3                      // wave_id == block_belong_to_wave?
v_cndmask_b32 v1, v2, v1, s[10:11]                 // wgMT = (wgMT < MT) ? wgMT : MT

/* mbReg: which mb block need to shift, mb(matrixInstCoal(16) * VectorWidth(2)) */
v_lshrrev_b32 v2, 5, v1                            // v2 = v1 / 32
v_lshlrev_b32 v4, 0x0, v3                          // v4 = v3 * 1
_v_sub_u32 v2, v2, v4                              // 

/* gbReg: glvw block id */
v_lshrrev_b32 v4, 1, v1                            // v4 = v1 / 2

/* tgbReg: glvw block id */
v_lshrrev_b32 v0, 4, v[vgprSerial]                 // v0 = v[vgprSerial] / 16
v_and_b32 v5, 3, v0                                // v5 = v0 % 4
v_lshlrev_b32 v5, 0x3, v5                          // v5 = v5 * 8
v_lshrrev_b32 v5, 1, v5                            // v5 = v5 / 2
v_lshlrev_b32 v3, 0x4, v3                          // v3 = v3 * 16
_v_add_co_u32 v5, vcc, v3, v5                      // tgbReg = (tid_coal * continOut) / GLVW
_v_sub_u32 v4, v4, v5                              // 

/* vwReg: glvw in which vw block? */
v_and_b32 v3, 7, v1                                // permute register between threads
v_lshrrev_b32 v3, 1, v3                            // permute register between threads

/* rReg : reminder of M_size % GlobalLoadVectorWidth */
v_and_b32 v5, 1, v1                                // v5 = v1 % 2
v_cmp_eq_u32 vcc, v5, 0x1                          // wgMT%VW == 1
s_cbranch_vccnz label_0026                         // branch to shift d1 r=1
s_branch label_0032                                // no shifting

/******************************************/
/* shift d1 r=1                           */
/******************************************/
label_0026:
v_cmp_eq_u32 vcc, v2, 0x0                          // 
s_cbranch_vccnz label_0027                         // branch to shift d1 r1 mb0

/******************************************/
/* shift d1 r=1 mb=0                      */
/******************************************/
label_0027: // r1 mb0 
v_cmp_eq_u32 vcc, v3, 0x0                          // 
s_cbranch_vccnz label_0028                         // branch to shift d1 r1 mb0 vw0
v_cmp_eq_u32 vcc, v3, 0x1                          // 
s_cbranch_vccnz label_0029                         // branch to shift d1 r1 mb0 vw1
v_cmp_eq_u32 vcc, v3, 0x2                          // 
s_cbranch_vccnz label_0030                         // branch to shift d1 r1 mb0 vw2
v_cmp_eq_u32 vcc, v3, 0x3                          // 
s_cbranch_vccnz label_0031                         // branch to shift d1 r1 mb0 vw3

/******************************************/
/* shift d1 r=1 mb=0 vw0                  */
/******************************************/
label_0028: // r1 mb0 vw0 
s_mov_b32 s10, 0                                   // 
_v_cmpx_eq_u32 s[10:11], v4, s10                   // is thread in edge glvw region
v_and_b32 v0, 63, v[vgprSerial]                    // permute register between threads
v_lshlrev_b32 v0, 2, v0                            // permute register between threads
v_accvgpr_read_b32 v5, acc8                        // glvw 1 mb 0 tt1 0 r 0
s_nop 1                                            // v_accvgpr read vgpr after write vgpr: 2 wait states
v_accvgpr_write_b32 acc0, v5                       // 
v_accvgpr_read_b32 v5, acc12                       // glvw 1 mb 0 tt1 1 r 0
s_nop 1                                            // v_accvgpr read vgpr after write vgpr: 2 wait states
v_accvgpr_write_b32 acc4, v5                       // 
s_mov_b64 s[10:11], 0xFFFFFFFFFFFFFFFF             // to restore all threads active
s_or_saveexec_b64 vcc, s[10:11]                    // all threads active
s_branch label_0032                                // done shifting


/******************************************/
/* shift d1 r=1 mb=0 vw1                  */
/******************************************/
label_0029: // r1 mb0 vw1 
s_mov_b32 s10, 1                                   // 
_v_cmpx_eq_u32 s[10:11], v4, s10                   // is thread in edge glvw region
v_and_b32 v0, 63, v[vgprSerial]                    // permute register between threads
v_lshlrev_b32 v0, 2, v0                            // permute register between threads
v_accvgpr_read_b32 v5, acc9                        // glvw 1 mb 0 tt1 0 r 0
s_nop 1                                            // v_accvgpr read vgpr after write vgpr: 2 wait states
v_accvgpr_write_b32 acc1, v5                       // 
v_accvgpr_read_b32 v5, acc13                       // glvw 1 mb 0 tt1 1 r 0
s_nop 1                                            // v_accvgpr read vgpr after write vgpr: 2 wait states
v_accvgpr_write_b32 acc5, v5                       // 
s_mov_b64 s[10:11], 0xFFFFFFFFFFFFFFFF             // to restore all threads active
s_or_saveexec_b64 vcc, s[10:11]                    // all threads active
s_branch label_0032                                // done shifting


/******************************************/
/* shift d1 r=1 mb=0 vw2                  */
/******************************************/
label_0030: // r1 mb0 vw2 
s_mov_b32 s10, 2                                   // 
_v_cmpx_eq_u32 s[10:11], v4, s10                   // is thread in edge glvw region
v_and_b32 v0, 63, v[vgprSerial]                    // permute register between threads
v_lshlrev_b32 v0, 2, v0                            // permute register between threads
v_accvgpr_read_b32 v5, acc10                       // glvw 1 mb 0 tt1 0 r 0
s_nop 1                                            // v_accvgpr read vgpr after write vgpr: 2 wait states
v_accvgpr_write_b32 acc2, v5                       // 
v_accvgpr_read_b32 v5, acc14                       // glvw 1 mb 0 tt1 1 r 0
s_nop 1                                            // v_accvgpr read vgpr after write vgpr: 2 wait states
v_accvgpr_write_b32 acc6, v5                       // 
s_mov_b64 s[10:11], 0xFFFFFFFFFFFFFFFF             // to restore all threads active
s_or_saveexec_b64 vcc, s[10:11]                    // all threads active
s_branch label_0032                                // done shifting


/******************************************/
/* shift d1 r=1 mb=0 vw3                  */
/******************************************/
label_0031: // r1 mb0 vw3 
s_mov_b32 s10, 3                                   // 
_v_cmpx_eq_u32 s[10:11], v4, s10                   // is thread in edge glvw region
v_and_b32 v0, 63, v[vgprSerial]                    // permute register between threads
v_lshlrev_b32 v0, 2, v0                            // permute register between threads
v_accvgpr_read_b32 v5, acc11                       // glvw 1 mb 0 tt1 0 r 0
s_nop 1                                            // v_accvgpr read vgpr after write vgpr: 2 wait states
v_accvgpr_write_b32 acc3, v5                       // 
v_accvgpr_read_b32 v5, acc15                       // glvw 1 mb 0 tt1 1 r 0
s_nop 1                                            // v_accvgpr read vgpr after write vgpr: 2 wait states
v_accvgpr_write_b32 acc7, v5                       // 
s_mov_b64 s[10:11], 0xFFFFFFFFFFFFFFFF             // to restore all threads active
s_or_saveexec_b64 vcc, s[10:11]                    // all threads active
s_branch label_0032                                // done shifting

label_0032: // end shift0


	;; [unrolled: 1-line block ×3, first 2 shown]
/* not-LocalSplitU: global write indices */

/* computeStoreVgprs */
v_lshrrev_b32 v4, 6, v[vgprSerial]                 // v4 = v[vgprSerial] / 64
v_and_b32 v1, 63, v[vgprSerial]                    // v1 = v[vgprSerial] % 64
v_lshrrev_b32 v1, 4, v1                            // v1 = v1 / 16
v_lshlrev_b32 v1, 0x2, v1                          // thread0 * continuous_output
v_lshrrev_b32 v5, 1, v4                            // v5 = v4 / 2
v_mul_lo_u32 v5, 0x10, v5                          // wave coordination offset 1
_v_add_lshl_u32 v1, v5, v1, 1                      // coordination 1 = vwb *(wave_id1 + tid1)
v_mul_lo_u32 v2, v1, s[sgprStrideC1J]              //  offset 1
v_mul_lo_u32 v3, v1, s[sgprStrideD1J]              //  offset 1
v_and_b32 v5, 1, v4                                // v5 = v4 % 2
v_mul_lo_u32 v5, 0x10, v5                          // wave coordination offset 0
v_and_b32 v0, 15, v[vgprSerial]                    // v0 = v[vgprSerial] % 16
_v_add_lshl_u32 v0, v5, v0, 1                      // coordination 0 = vwa *(wave_id0 + tid0)
s_mul_i32 s10, 64, s[sgprWorkGroup0]               // wgp0 * MT0
_v_add_u32 v0, s10, v0                             // coord 0 = (tid0/MI_m)*4 + waveG0*MIB_m + MT0*SG0
s_mul_i32 s10, 64, s[sgprWorkGroup1]               // wgp1 * MT1
_v_add_u32 v1, s10, v1                             // coord 1 = (tid0%MI_m) + waveG1*MIB_n + MT1*SG1


/* not-LocalSplitU: global write */

s_and_b32 s56, 63, s[sgprSizeI]                    // s56 = s[sgprSizeI] % 64
s_add_u32 s57, -0x1, s[sgprNumWorkGroups0]         // 
s_cmp_ge_u32 s[sgprWorkGroup0], s57                // wg0 >= nwg0-1 ?
s_cselect_b32 s56, s56, 0                          // set rMT0
s_cmpk_gt_u32 s56, 0x0                             // rMT0 > 0
s_cbranch_scc1 GW_B0_E1_43                         // jump if edges required
s_and_b32 s56, 63, s[sgprSizeJ]                    // s56 = s[sgprSizeJ] % 64
s_add_u32 s57, -0x1, s[sgprNumWorkGroups1]         // 
s_cmp_ge_u32 s[sgprWorkGroup1], s57                // wg1 >= nwg1-1
s_cselect_b32 s56, s56, 0                          // set rMT1
s_cmpk_gt_u32 s56, 0x0                             // rMT1 > 0
s_cbranch_scc1 GW_B0_E1_43                         // jump if edges required
GW_B0_E0_40:

/* edge=0, allocate 2 sgpr. perBatchTmpS=2 perBatchMaskS=0 perElementMaskS=0 elementsPerBatch=16 */
/* optSingleColVgpr=1 optSharedColVgpr=0 optSGPRUsage=BufferLoad_Mask optSrdIncForRow=1 */

/******************************************/
/* Global Write Alpha Batch #0 (d1,d0,vc1,vc0) = */
/*    (0,0,0,0:vw2); (0,0,1,0:vw2); (0,0,2,0:vw2); (0,0,3,0:vw2); (0,0,4,0:vw2); (0,0,5,0:vw2); (0,0,6,0:vw2); (0,0,7,0:vw2) */
/******************************************/

/* calc coords, apply mask, and issue loads (if necessary) */
/* (d1,vc1,d0,vc0)=(0,0,0,0) */
/* (d1,vc1,d0,vc0)=(0,1,0,0) */
	;; [unrolled: 1-line block ×8, first 2 shown]
_v_add_lshl_u32 v10, v3, v0, 0x2                   // optSingleColVgpr scaleToBpe: sharedAddrVgpr <- cinRowPtr + coord0, scaled by BPE. BSHERE:coord0=0, coord0Vgpr=0
v_accvgpr_read_b32 v[vgprValuC+12], acc0 // copy acc to vreg[0]
v_accvgpr_read_b32 v[vgprValuC+13], acc4 // copy acc to vreg[1]
v_accvgpr_read_b32 v[vgprValuC+14], acc8 // copy acc to vreg[2]
v_accvgpr_read_b32 v[vgprValuC+15], acc12 // copy acc to vreg[3]
v_accvgpr_read_b32 v[vgprValuC+16], acc1 // copy acc to vreg[4]
v_accvgpr_read_b32 v[vgprValuC+17], acc5 // copy acc to vreg[5]
v_accvgpr_read_b32 v[vgprValuC+18], acc9 // copy acc to vreg[6]
v_accvgpr_read_b32 v[vgprValuC+19], acc13 // copy acc to vreg[7]
v_accvgpr_read_b32 v[vgprValuC+20], acc2 // copy acc to vreg[8]
v_accvgpr_read_b32 v[vgprValuC+21], acc6 // copy acc to vreg[9]
v_accvgpr_read_b32 v[vgprValuC+22], acc10 // copy acc to vreg[10]
v_accvgpr_read_b32 v[vgprValuC+23], acc14 // copy acc to vreg[11]
v_accvgpr_read_b32 v[vgprValuC+24], acc3 // copy acc to vreg[12]
v_accvgpr_read_b32 v[vgprValuC+25], acc7 // copy acc to vreg[13]
v_accvgpr_read_b32 v[vgprValuC+26], acc11 // copy acc to vreg[14]
v_accvgpr_read_b32 v[vgprValuC+27], acc15 // copy acc to vreg[15]
s_nop 1                                            // 2 wait states required before reading vgpr

/* rC *= alpha batchElements=[(0, 0, 0, 0), (0, 0, 1, 0), (0, 0, 2, 0), (0, 0, 3, 0), (0, 0, 4, 0), (0, 0, 5, 0), (0, 0, 6, 0), (0, 0, 7, 0)] */

/* apply mask, calc new C and issue writes */
v_mov_b32 v7, 0xffff0000                           // mask for pack two bfloat16 element to 32bit
v_mov_b32 v8, 0x7fff0000                           // fp32 Nan
v_mov_b32 v9, 0x7fff                               // rounding bias for bfloat16
_buffer_store_b64 v[12:13], v10, s[sgprSrdD:sgprSrdD+3], 0, offen, offset:0 // store D
s_lshl_b32  s10, s[sgprStrideD1J], 2               // incToNextRow: Scale by BPE
s_add_u32  s[sgprSrdD+0], s[sgprSrdD+0], s10       // incToNextRow: gra SRD += inc(lower)
s_addc_u32  s[sgprSrdD+1], s[sgprSrdD+1], 0        // incToNextRow: gra SRD += inc(upper)
_buffer_store_b64 v[14:15], v10, s[sgprSrdD:sgprSrdD+3], 0, offen, offset:0 // store D
s_lshl_b32  s10, s[sgprStrideD1J], 2               // incToNextRow: Scale by BPE
s_add_u32  s[sgprSrdD+0], s[sgprSrdD+0], s10       // incToNextRow: gra SRD += inc(lower)
s_addc_u32  s[sgprSrdD+1], s[sgprSrdD+1], 0        // incToNextRow: gra SRD += inc(upper)
_buffer_store_b64 v[16:17], v10, s[sgprSrdD:sgprSrdD+3], 0, offen, offset:0 // store D
s_lshl_b32  s10, s[sgprStrideD1J], 2               // incToNextRow: Scale by BPE
s_add_u32  s[sgprSrdD+0], s[sgprSrdD+0], s10       // incToNextRow: gra SRD += inc(lower)
s_addc_u32  s[sgprSrdD+1], s[sgprSrdD+1], 0        // incToNextRow: gra SRD += inc(upper)
_buffer_store_b64 v[18:19], v10, s[sgprSrdD:sgprSrdD+3], 0, offen, offset:0 // store D
s_lshl_b32  s10, s[sgprStrideD1J], 2               // incToNextRow: Scale by BPE
s_add_u32  s[sgprSrdD+0], s[sgprSrdD+0], s10       // incToNextRow: gra SRD += inc(lower)
s_addc_u32  s[sgprSrdD+1], s[sgprSrdD+1], 0        // incToNextRow: gra SRD += inc(upper)
_buffer_store_b64 v[20:21], v10, s[sgprSrdD:sgprSrdD+3], 0, offen, offset:0 // store D
s_lshl_b32  s10, s[sgprStrideD1J], 2               // incToNextRow: Scale by BPE
s_add_u32  s[sgprSrdD+0], s[sgprSrdD+0], s10       // incToNextRow: gra SRD += inc(lower)
s_addc_u32  s[sgprSrdD+1], s[sgprSrdD+1], 0        // incToNextRow: gra SRD += inc(upper)
_buffer_store_b64 v[22:23], v10, s[sgprSrdD:sgprSrdD+3], 0, offen, offset:0 // store D
s_lshl_b32  s10, s[sgprStrideD1J], 2               // incToNextRow: Scale by BPE
s_add_u32  s[sgprSrdD+0], s[sgprSrdD+0], s10       // incToNextRow: gra SRD += inc(lower)
s_addc_u32  s[sgprSrdD+1], s[sgprSrdD+1], 0        // incToNextRow: gra SRD += inc(upper)
_buffer_store_b64 v[24:25], v10, s[sgprSrdD:sgprSrdD+3], 0, offen, offset:0 // store D
s_lshl_b32  s10, s[sgprStrideD1J], 2               // incToNextRow: Scale by BPE
s_add_u32  s[sgprSrdD+0], s[sgprSrdD+0], s10       // incToNextRow: gra SRD += inc(lower)
s_addc_u32  s[sgprSrdD+1], s[sgprSrdD+1], 0        // incToNextRow: gra SRD += inc(upper)
_buffer_store_b64 v[26:27], v10, s[sgprSrdD:sgprSrdD+3], 0, offen, offset:0 // store D
s_nop 0                                            // 1 wait state required when next inst writes vgprs held by previous dwordx4 store inst
s_branch label_GW_End_45                           // jump to end
GW_B0_E1_43:

/* edge=1, allocate 6 sgpr. perBatchTmpS=4 perBatchMaskS=2 perElementMaskS=0 elementsPerBatch=16 */
/* optSingleColVgpr=0 optSharedColVgpr=0 optSGPRUsage=BufferLoad_Edge_Mask optSrdIncForRow=0 */

/******************************************/
/* Global Write Alpha Edge Batch #0 (d1,d0,vc1,vc0) = */
/*    (0,0,0,0:vw1); (0,0,0,1:vw1); (0,0,1,0:vw1); (0,0,1,1:vw1); (0,0,2,0:vw1); (0,0,2,1:vw1); (0,0,3,0:vw1); (0,0,3,1:vw1); (0,0,4,0:vw1); (0,0,4,1:vw1); (0,0,5,0:vw1); (0,0,5,1:vw1); (0,0,6,0:vw1); (0,0,6,1:vw1); (0,0,7,0:vw1); (0,0,7,1:vw1) */
/******************************************/

/* calc coords, apply mask, and issue loads (if necessary) */
/* (d1,vc1,d0,vc0)=(0,0,0,0) */
v_cmp_lt_u32 s[56:57], v0, s[sgprSizeI]            // coord0 < size0
v_cmp_lt_u32 s[60:61], v1, s[sgprSizeJ]            // coord1 < size1
s_and_b64 s[60:61], s[56:57], s[60:61]             // in0 && in1
_v_add_lshl_u32 v10, v3, v0, 0x2                   // scaleToBpe: accumulate d0 lower and *= bpe into Cin addr
v_cndmask_b32 v10, -1, v10, s[60:61]               // LDD clip if OOB. offset
/* (d1,vc1,d0,vc0)=(0,0,0,1) */
_v_add_co_u32 v4, vcc, v0, 1                       // coord0.1: coord0 += d0*sg0*VW + vc0
v_cmp_lt_u32 s[56:57], v4, s[sgprSizeI]            // coord0 < size0
v_cmp_lt_u32 s[60:61], v1, s[sgprSizeJ]            // coord1 < size1
s_and_b64 s[60:61], s[56:57], s[60:61]             // in0 && in1
_v_add_lshl_u32 v12, v3, v4, 0x2                   // scaleToBpe: accumulate d0 lower and *= bpe into Cin addr
v_cndmask_b32 v12, -1, v12, s[60:61]               // LDD clip if OOB. offset
/* (d1,vc1,d0,vc0)=(0,1,0,0) */
_v_add_co_u32 v1, vcc, v1, 1                       // coord1.1: coord1Vgpr += d1*sg1*VW + vc1

/* Fix for UseInitialStridesCD, emitAddressSetupCode */
_v_add_u32 v2, v2, s[sgprStrideC1J]                // ROWINC- Move cinRowPtr to next row
_v_add_u32 v3, v3, s[sgprStrideD1J]                // Move coutRowPtr to next row
v_cmp_lt_u32 s[56:57], v0, s[sgprSizeI]            // coord0 < size0
v_cmp_lt_u32 s[60:61], v1, s[sgprSizeJ]            // coord1 < size1
s_and_b64 s[60:61], s[56:57], s[60:61]             // in0 && in1
_v_add_lshl_u32 v14, v3, v0, 0x2                   // scaleToBpe: accumulate d0 lower and *= bpe into Cin addr
v_cndmask_b32 v14, -1, v14, s[60:61]               // LDD clip if OOB. offset
/* (d1,vc1,d0,vc0)=(0,1,0,1) */
_v_add_co_u32 v4, vcc, v0, 1                       // coord0.1: coord0 += d0*sg0*VW + vc0
v_cmp_lt_u32 s[56:57], v4, s[sgprSizeI]            // coord0 < size0
v_cmp_lt_u32 s[60:61], v1, s[sgprSizeJ]            // coord1 < size1
s_and_b64 s[60:61], s[56:57], s[60:61]             // in0 && in1
_v_add_lshl_u32 v16, v3, v4, 0x2                   // scaleToBpe: accumulate d0 lower and *= bpe into Cin addr
v_cndmask_b32 v16, -1, v16, s[60:61]               // LDD clip if OOB. offset
/* (d1,vc1,d0,vc0)=(0,2,0,0) */
_v_add_co_u32 v1, vcc, v1, 1                       // coord1.1: coord1Vgpr += d1*sg1*VW + vc1

/* Fix for UseInitialStridesCD, emitAddressSetupCode */
_v_add_u32 v2, v2, s[sgprStrideC1J]                // ROWINC- Move cinRowPtr to next row
_v_add_u32 v3, v3, s[sgprStrideD1J]                // Move coutRowPtr to next row
	;; [unrolled: 18-line block ×7, first 2 shown]
v_cmp_lt_u32 s[56:57], v0, s[sgprSizeI]            // coord0 < size0
v_cmp_lt_u32 s[60:61], v1, s[sgprSizeJ]            // coord1 < size1
s_and_b64 s[60:61], s[56:57], s[60:61]             // in0 && in1
_v_add_lshl_u32 v38, v3, v0, 0x2                   // scaleToBpe: accumulate d0 lower and *= bpe into Cin addr
v_cndmask_b32 v38, -1, v38, s[60:61]               // LDD clip if OOB. offset
/* (d1,vc1,d0,vc0)=(0,7,0,1) */
_v_add_co_u32 v4, vcc, v0, 1                       // coord0.1: coord0 += d0*sg0*VW + vc0
v_cmp_lt_u32 s[56:57], v4, s[sgprSizeI]            // coord0 < size0
v_cmp_lt_u32 s[60:61], v1, s[sgprSizeJ]            // coord1 < size1
s_and_b64 s[60:61], s[56:57], s[60:61]             // in0 && in1
_v_add_lshl_u32 v40, v3, v4, 0x2                   // scaleToBpe: accumulate d0 lower and *= bpe into Cin addr
v_cndmask_b32 v40, -1, v40, s[60:61]               // LDD clip if OOB. offset
v_accvgpr_read_b32 v[vgprValuC+11], acc0 // copy acc to vreg[0]
v_accvgpr_read_b32 v[vgprValuC+13], acc4 // copy acc to vreg[1]
v_accvgpr_read_b32 v[vgprValuC+15], acc8 // copy acc to vreg[2]
v_accvgpr_read_b32 v[vgprValuC+17], acc12 // copy acc to vreg[3]
v_accvgpr_read_b32 v[vgprValuC+19], acc1 // copy acc to vreg[4]
v_accvgpr_read_b32 v[vgprValuC+21], acc5 // copy acc to vreg[5]
v_accvgpr_read_b32 v[vgprValuC+23], acc9 // copy acc to vreg[6]
v_accvgpr_read_b32 v[vgprValuC+25], acc13 // copy acc to vreg[7]
v_accvgpr_read_b32 v[vgprValuC+27], acc2 // copy acc to vreg[8]
v_accvgpr_read_b32 v[vgprValuC+29], acc6 // copy acc to vreg[9]
v_accvgpr_read_b32 v[vgprValuC+31], acc10 // copy acc to vreg[10]
v_accvgpr_read_b32 v[vgprValuC+33], acc14 // copy acc to vreg[11]
v_accvgpr_read_b32 v[vgprValuC+35], acc3 // copy acc to vreg[12]
v_accvgpr_read_b32 v[vgprValuC+37], acc7 // copy acc to vreg[13]
v_accvgpr_read_b32 v[vgprValuC+39], acc11 // copy acc to vreg[14]
v_accvgpr_read_b32 v[vgprValuC+41], acc15 // copy acc to vreg[15]
s_nop 1                                            // 2 wait states required before reading vgpr

/* rC *= alpha batchElements=[(0, 0, 0, 0), (0, 0, 0, 1), (0, 0, 1, 0), (0, 0, 1, 1), (0, 0, 2, 0), (0, 0, 2, 1), (0, 0, 3, 0), (0, 0, 3, 1), (0, 0, 4, 0), (0, 0, 4, 1), (0, 0, 5, 0), (0, 0, 5, 1), (0, 0, 6, 0), (0, 0, 6, 1), (0, 0, 7, 0), (0, 0, 7, 1)] */

/* apply mask, calc new C and issue writes */
v_mov_b32 v7, 0xffff0000                           // mask for pack two bfloat16 element to 32bit
v_mov_b32 v8, 0x7fff0000                           // fp32 Nan
v_mov_b32 v9, 0x7fff                               // rounding bias for bfloat16
_buffer_store_b32 v11, v10, s[sgprSrdD:sgprSrdD+3], 0, offen, offset:0 // store D
_buffer_store_b32 v13, v12, s[sgprSrdD:sgprSrdD+3], 0, offen, offset:0 // store D
	;; [unrolled: 1-line block ×16, first 2 shown]
s_nop 0                                            // 1 wait state required when next inst writes vgprs held by previous dwordx4 store inst
s_branch label_GW_End_45                           // jump to end
label_GW_End_45:

label_0050:  /// KernelEnd
s_endpgm                                           // Kernel End

